;; amdgpu-corpus repo=ROCm/rocFFT kind=compiled arch=gfx906 opt=O3
	.text
	.amdgcn_target "amdgcn-amd-amdhsa--gfx906"
	.amdhsa_code_object_version 6
	.protected	bluestein_single_back_len1040_dim1_sp_op_CI_CI ; -- Begin function bluestein_single_back_len1040_dim1_sp_op_CI_CI
	.globl	bluestein_single_back_len1040_dim1_sp_op_CI_CI
	.p2align	8
	.type	bluestein_single_back_len1040_dim1_sp_op_CI_CI,@function
bluestein_single_back_len1040_dim1_sp_op_CI_CI: ; @bluestein_single_back_len1040_dim1_sp_op_CI_CI
; %bb.0:
	s_load_dwordx4 s[0:3], s[4:5], 0x28
	v_mul_u32_u24_e32 v1, 0x13c, v0
	v_add_u32_sdwa v70, s6, v1 dst_sel:DWORD dst_unused:UNUSED_PAD src0_sel:DWORD src1_sel:WORD_1
	v_mov_b32_e32 v71, 0
	s_waitcnt lgkmcnt(0)
	v_cmp_gt_u64_e32 vcc, s[0:1], v[70:71]
	s_and_saveexec_b64 s[0:1], vcc
	s_cbranch_execz .LBB0_23
; %bb.1:
	s_load_dwordx2 s[14:15], s[4:5], 0x0
	s_load_dwordx2 s[12:13], s[4:5], 0x38
	s_movk_i32 s0, 0xd0
	v_mul_lo_u16_sdwa v1, v1, s0 dst_sel:DWORD dst_unused:UNUSED_PAD src0_sel:WORD_1 src1_sel:DWORD
	v_sub_u16_e32 v74, v0, v1
	s_movk_i32 s0, 0x50
	v_cmp_gt_u16_e32 vcc, s0, v74
	v_lshlrev_b32_e32 v73, 3, v74
	s_and_saveexec_b64 s[6:7], vcc
	s_cbranch_execz .LBB0_3
; %bb.2:
	s_load_dwordx2 s[0:1], s[4:5], 0x18
	s_waitcnt lgkmcnt(0)
	v_mov_b32_e32 v30, s15
	v_or_b32_e32 v41, 0x280, v74
	s_load_dwordx4 s[8:11], s[0:1], 0x0
	s_waitcnt lgkmcnt(0)
	v_mad_u64_u32 v[0:1], s[0:1], s10, v70, 0
	v_mad_u64_u32 v[2:3], s[0:1], s8, v74, 0
	s_movk_i32 s10, 0x1000
	v_mad_u64_u32 v[4:5], s[0:1], s11, v70, v[1:2]
	v_mad_u64_u32 v[5:6], s[0:1], s9, v74, v[3:4]
	v_mov_b32_e32 v1, v4
	v_lshlrev_b64 v[0:1], 3, v[0:1]
	v_mov_b32_e32 v3, v5
	v_mov_b32_e32 v6, s3
	v_lshlrev_b64 v[2:3], 3, v[2:3]
	v_add_co_u32_e64 v39, s[0:1], s2, v0
	v_addc_co_u32_e64 v40, s[0:1], v6, v1, s[0:1]
	v_add_co_u32_e64 v0, s[0:1], v39, v2
	v_addc_co_u32_e64 v1, s[0:1], v40, v3, s[0:1]
	s_mul_i32 s0, s9, 0x280
	s_mul_hi_u32 s3, s8, 0x280
	s_add_i32 s3, s3, s0
	s_mul_i32 s2, s8, 0x280
	v_mov_b32_e32 v3, s3
	v_add_co_u32_e64 v2, s[0:1], s2, v0
	v_addc_co_u32_e64 v3, s[0:1], v1, v3, s[0:1]
	v_mov_b32_e32 v13, s3
	v_add_co_u32_e64 v12, s[0:1], s2, v2
	v_addc_co_u32_e64 v13, s[0:1], v3, v13, s[0:1]
	v_mov_b32_e32 v15, s3
	v_add_co_u32_e64 v14, s[0:1], s2, v12
	v_addc_co_u32_e64 v15, s[0:1], v13, v15, s[0:1]
	global_load_dwordx2 v[4:5], v73, s[14:15]
	global_load_dwordx2 v[6:7], v73, s[14:15] offset:640
	global_load_dwordx2 v[8:9], v73, s[14:15] offset:1280
	;; [unrolled: 1-line block ×3, first 2 shown]
	v_mov_b32_e32 v24, s3
	global_load_dwordx2 v[16:17], v[0:1], off
	global_load_dwordx2 v[18:19], v[2:3], off
	;; [unrolled: 1-line block ×4, first 2 shown]
	v_add_co_u32_e64 v0, s[0:1], s2, v14
	v_addc_co_u32_e64 v1, s[0:1], v15, v24, s[0:1]
	v_mov_b32_e32 v25, s3
	global_load_dwordx2 v[2:3], v[0:1], off
	v_add_co_u32_e64 v0, s[0:1], s2, v0
	v_addc_co_u32_e64 v1, s[0:1], v1, v25, s[0:1]
	v_mov_b32_e32 v26, s3
	global_load_dwordx2 v[12:13], v[0:1], off
	v_add_co_u32_e64 v0, s[0:1], s2, v0
	v_addc_co_u32_e64 v1, s[0:1], v1, v26, s[0:1]
	v_add_co_u32_e64 v36, s[0:1], s14, v73
	v_addc_co_u32_e64 v37, s[0:1], 0, v30, s[0:1]
	v_mad_u64_u32 v[30:31], s[0:1], s8, v41, 0
	global_load_dwordx2 v[14:15], v73, s[14:15] offset:2560
	global_load_dwordx2 v[24:25], v73, s[14:15] offset:3200
	;; [unrolled: 1-line block ×3, first 2 shown]
	global_load_dwordx2 v[28:29], v[0:1], off
	v_mov_b32_e32 v32, s3
	v_add_co_u32_e64 v0, s[0:1], s2, v0
	v_addc_co_u32_e64 v1, s[0:1], v1, v32, s[0:1]
	global_load_dwordx2 v[32:33], v[0:1], off
	s_waitcnt vmcnt(0)
	v_mad_u64_u32 v[34:35], s[0:1], s9, v41, v[31:32]
	v_add_co_u32_e64 v35, s[0:1], s10, v36
	v_mov_b32_e32 v31, v34
	v_lshlrev_b64 v[30:31], 3, v[30:31]
	v_addc_co_u32_e64 v36, s[0:1], 0, v37, s[0:1]
	v_add_co_u32_e64 v30, s[0:1], v39, v30
	v_mov_b32_e32 v34, 0x500
	v_addc_co_u32_e64 v31, s[0:1], v40, v31, s[0:1]
	v_mad_u64_u32 v[0:1], s[0:1], s8, v34, v[0:1]
	s_mul_i32 s0, s9, 0x500
	global_load_dwordx2 v[37:38], v[35:36], off offset:384
	v_lshlrev_b32_e32 v34, 3, v41
	v_add_u32_e32 v1, s0, v1
	global_load_dwordx2 v[39:40], v34, s[14:15]
	global_load_dwordx2 v[41:42], v[0:1], off
	v_mov_b32_e32 v34, s3
	v_add_co_u32_e64 v0, s[0:1], s2, v0
	v_addc_co_u32_e64 v1, s[0:1], v1, v34, s[0:1]
	global_load_dwordx2 v[30:31], v[30:31], off
	s_nop 0
	global_load_dwordx2 v[43:44], v[35:36], off offset:1664
	global_load_dwordx2 v[45:46], v[0:1], off
	global_load_dwordx2 v[47:48], v[35:36], off offset:2304
	v_add_co_u32_e64 v0, s[0:1], s2, v0
	v_addc_co_u32_e64 v1, s[0:1], v1, v34, s[0:1]
	global_load_dwordx2 v[49:50], v[0:1], off
	global_load_dwordx2 v[51:52], v[35:36], off offset:2944
	v_add_co_u32_e64 v0, s[0:1], s2, v0
	v_addc_co_u32_e64 v1, s[0:1], v1, v34, s[0:1]
	global_load_dwordx2 v[53:54], v[0:1], off
	global_load_dwordx2 v[55:56], v[35:36], off offset:3584
	v_mul_f32_e32 v0, v16, v5
	v_fma_f32 v1, v17, v4, -v0
	v_mul_f32_e32 v0, v17, v5
	v_fmac_f32_e32 v0, v16, v4
	v_mul_f32_e32 v4, v18, v7
	v_fma_f32 v5, v19, v6, -v4
	v_mul_f32_e32 v4, v19, v7
	v_fmac_f32_e32 v4, v18, v6
	ds_write2_b64 v73, v[0:1], v[4:5] offset1:80
	v_mul_f32_e32 v0, v20, v9
	v_mul_f32_e32 v4, v22, v11
	v_fma_f32 v1, v21, v8, -v0
	v_mul_f32_e32 v0, v21, v9
	v_fma_f32 v5, v23, v10, -v4
	v_mul_f32_e32 v4, v23, v11
	v_fmac_f32_e32 v0, v20, v8
	v_fmac_f32_e32 v4, v22, v10
	v_mul_f32_e32 v6, v3, v15
	v_mul_f32_e32 v7, v2, v15
	ds_write2_b64 v73, v[0:1], v[4:5] offset0:160 offset1:240
	v_mul_f32_e32 v0, v13, v25
	v_mul_f32_e32 v1, v12, v25
	v_add_u32_e32 v16, 0x800, v73
	v_fmac_f32_e32 v6, v2, v14
	v_fma_f32 v7, v3, v14, -v7
	v_fmac_f32_e32 v0, v12, v24
	v_fma_f32 v1, v13, v24, -v1
	ds_write2_b64 v16, v[6:7], v[0:1] offset0:64 offset1:144
	v_mul_f32_e32 v2, v29, v27
	v_mul_f32_e32 v3, v28, v27
	v_fmac_f32_e32 v2, v28, v26
	v_fma_f32 v3, v29, v26, -v3
	v_add_u32_e32 v4, 0xc00, v73
	s_waitcnt vmcnt(10)
	v_mul_f32_e32 v0, v32, v38
	v_fma_f32 v1, v33, v37, -v0
	v_mul_f32_e32 v0, v33, v38
	v_fmac_f32_e32 v0, v32, v37
	ds_write2_b64 v4, v[2:3], v[0:1] offset0:96 offset1:176
	v_add_u32_e32 v4, 0x1000, v73
	s_waitcnt vmcnt(6)
	v_mul_f32_e32 v2, v42, v44
	v_mul_f32_e32 v0, v31, v40
	;; [unrolled: 1-line block ×4, first 2 shown]
	v_fmac_f32_e32 v0, v30, v39
	v_fma_f32 v1, v31, v39, -v1
	v_fmac_f32_e32 v2, v41, v43
	v_fma_f32 v3, v42, v43, -v3
	ds_write2_b64 v4, v[0:1], v[2:3] offset0:128 offset1:208
	s_waitcnt vmcnt(4)
	v_mul_f32_e32 v0, v46, v48
	v_mul_f32_e32 v1, v45, v48
	s_waitcnt vmcnt(2)
	v_mul_f32_e32 v2, v50, v52
	v_mul_f32_e32 v3, v49, v52
	v_fmac_f32_e32 v0, v45, v47
	v_fma_f32 v1, v46, v47, -v1
	v_fmac_f32_e32 v2, v49, v51
	v_fma_f32 v3, v50, v51, -v3
	v_add_u32_e32 v4, 0x1800, v73
	ds_write2_b64 v4, v[0:1], v[2:3] offset0:32 offset1:112
	s_waitcnt vmcnt(0)
	v_mul_f32_e32 v0, v54, v56
	v_mul_f32_e32 v1, v53, v56
	v_fmac_f32_e32 v0, v53, v55
	v_fma_f32 v1, v54, v55, -v1
	ds_write_b64 v73, v[0:1] offset:7680
.LBB0_3:
	s_or_b64 exec, exec, s[6:7]
	v_mov_b32_e32 v4, 0
	v_mov_b32_e32 v5, 0
	s_waitcnt lgkmcnt(0)
	s_barrier
	s_waitcnt lgkmcnt(0)
                                        ; implicit-def: $vgpr24
                                        ; implicit-def: $vgpr14
                                        ; implicit-def: $vgpr22
                                        ; implicit-def: $vgpr2
                                        ; implicit-def: $vgpr18
                                        ; implicit-def: $vgpr10
	s_and_saveexec_b64 s[0:1], vcc
	s_cbranch_execz .LBB0_5
; %bb.4:
	v_add_u32_e32 v0, 0x800, v73
	v_add_u32_e32 v12, 0x1000, v73
	ds_read2_b64 v[4:7], v73 offset1:80
	ds_read2_b64 v[8:11], v73 offset0:160 offset1:240
	ds_read2_b64 v[16:19], v0 offset0:64 offset1:144
	v_add_u32_e32 v0, 0xc00, v73
	ds_read2_b64 v[20:23], v12 offset0:128 offset1:208
	v_add_u32_e32 v12, 0x1800, v73
	ds_read2_b64 v[0:3], v0 offset0:96 offset1:176
	ds_read2_b64 v[12:15], v12 offset0:32 offset1:112
	ds_read_b64 v[24:25], v73 offset:7680
.LBB0_5:
	s_or_b64 exec, exec, s[0:1]
	s_waitcnt lgkmcnt(6)
	v_add_f32_e32 v27, v7, v5
	v_add_f32_e32 v26, v6, v4
	s_waitcnt lgkmcnt(5)
	v_add_f32_e32 v27, v9, v27
	v_add_f32_e32 v26, v8, v26
	v_add_f32_e32 v27, v11, v27
	v_add_f32_e32 v26, v10, v26
	s_waitcnt lgkmcnt(4)
	v_add_f32_e32 v27, v17, v27
	v_add_f32_e32 v26, v16, v26
	;; [unrolled: 5-line block ×3, first 2 shown]
	v_add_f32_e32 v29, v3, v29
	v_add_f32_e32 v34, v21, v19
	v_sub_f32_e32 v19, v19, v21
	v_add_f32_e32 v28, v2, v28
	v_add_f32_e32 v21, v21, v29
	;; [unrolled: 1-line block ×3, first 2 shown]
	v_sub_f32_e32 v18, v18, v20
	v_add_f32_e32 v20, v20, v28
	v_add_f32_e32 v21, v23, v21
	;; [unrolled: 1-line block ×3, first 2 shown]
	s_waitcnt lgkmcnt(1)
	v_add_f32_e32 v55, v13, v11
	v_sub_f32_e32 v11, v11, v13
	v_add_f32_e32 v13, v13, v21
	v_add_f32_e32 v26, v23, v17
	v_sub_f32_e32 v17, v17, v23
	v_add_f32_e32 v23, v15, v9
	v_sub_f32_e32 v9, v9, v15
	;; [unrolled: 2-line block ×3, first 2 shown]
	v_add_f32_e32 v12, v12, v20
	v_add_f32_e32 v13, v15, v13
	s_waitcnt lgkmcnt(0)
	v_sub_f32_e32 v15, v7, v25
	v_add_f32_e32 v27, v22, v16
	v_sub_f32_e32 v16, v16, v22
	v_add_f32_e32 v22, v14, v8
	v_sub_f32_e32 v8, v8, v14
	v_add_f32_e32 v12, v14, v12
	v_add_f32_e32 v14, v24, v6
	v_mul_f32_e32 v20, 0xbeedf032, v15
	s_mov_b32 s2, 0x3f62ad3f
	s_mov_b32 s1, 0x3f116cb1
	v_mul_f32_e32 v28, 0xbf52af12, v15
	s_mov_b32 s0, 0x3df6dbef
	v_mul_f32_e32 v30, 0xbf7e222b, v15
	;; [unrolled: 2-line block ×4, first 2 shown]
	v_mul_f32_e32 v15, 0xbe750f2a, v15
	s_mov_b32 s7, 0xbf788fa5
	v_sub_f32_e32 v6, v6, v24
	v_fma_f32 v21, v14, s2, -v20
	v_fmac_f32_e32 v20, 0x3f62ad3f, v14
	v_fma_f32 v29, v14, s1, -v28
	v_fmac_f32_e32 v28, 0x3f116cb1, v14
	;; [unrolled: 2-line block ×6, first 2 shown]
	v_mul_f32_e32 v14, 0xbeedf032, v6
	v_mul_f32_e32 v40, 0xbf52af12, v6
	;; [unrolled: 1-line block ×6, first 2 shown]
	v_add_f32_e32 v7, v25, v7
	v_mov_b32_e32 v39, v14
	v_mov_b32_e32 v41, v40
	;; [unrolled: 1-line block ×6, first 2 shown]
	v_fmac_f32_e32 v39, 0x3f62ad3f, v7
	v_fma_f32 v14, v7, s2, -v14
	v_fmac_f32_e32 v41, 0x3f116cb1, v7
	v_fma_f32 v40, v7, s1, -v40
	;; [unrolled: 2-line block ×6, first 2 shown]
	v_add_f32_e32 v7, v21, v4
	v_add_f32_e32 v21, v39, v5
	;; [unrolled: 1-line block ×14, first 2 shown]
	v_sub_f32_e32 v0, v0, v2
	v_mul_f32_e32 v2, 0xbf52af12, v9
	v_add_f32_e32 v49, v28, v4
	v_add_f32_e32 v28, v24, v12
	;; [unrolled: 1-line block ×3, first 2 shown]
	v_sub_f32_e32 v1, v1, v3
	v_fma_f32 v3, v22, s1, -v2
	v_add_f32_e32 v3, v3, v7
	v_mul_f32_e32 v7, 0xbf7e222b, v11
	v_add_f32_e32 v39, v29, v4
	v_add_f32_e32 v29, v25, v13
	v_fma_f32 v13, v54, s0, -v7
	v_add_f32_e32 v3, v13, v3
	v_mul_f32_e32 v13, 0xbf6f5d39, v17
	v_add_f32_e32 v20, v20, v4
	v_add_f32_e32 v50, v31, v4
	;; [unrolled: 1-line block ×9, first 2 shown]
	v_fma_f32 v15, v27, s3, -v13
	v_add_f32_e32 v3, v15, v3
	v_mul_f32_e32 v15, 0xbf29c268, v19
	v_fma_f32 v24, v35, s6, -v15
	v_add_f32_e32 v3, v24, v3
	v_mul_f32_e32 v24, 0xbe750f2a, v1
	;; [unrolled: 3-line block ×3, first 2 shown]
	v_mov_b32_e32 v25, v3
	v_fmac_f32_e32 v25, 0x3f116cb1, v23
	v_fmac_f32_e32 v2, 0x3f116cb1, v22
	v_add_f32_e32 v21, v25, v21
	v_mul_f32_e32 v25, 0xbf7e222b, v10
	v_add_f32_e32 v2, v2, v20
	v_fma_f32 v3, v23, s1, -v3
	v_fmac_f32_e32 v7, 0x3df6dbef, v54
	v_mov_b32_e32 v31, v25
	v_mul_f32_e32 v32, 0xbf6f5d39, v16
	v_add_f32_e32 v3, v3, v14
	v_add_f32_e32 v2, v7, v2
	v_fma_f32 v7, v55, s0, -v25
	v_fmac_f32_e32 v13, 0xbeb58ec6, v27
	v_fmac_f32_e32 v31, 0x3df6dbef, v55
	v_mul_f32_e32 v33, 0xbf29c268, v18
	v_add_f32_e32 v3, v7, v3
	v_add_f32_e32 v2, v13, v2
	v_fma_f32 v7, v26, s3, -v32
	v_fmac_f32_e32 v15, 0xbf3f9e67, v35
	v_add_f32_e32 v21, v31, v21
	v_mov_b32_e32 v31, v32
	v_mul_f32_e32 v36, 0xbe750f2a, v0
	v_add_f32_e32 v3, v7, v3
	v_add_f32_e32 v2, v15, v2
	v_fma_f32 v7, v34, s6, -v33
	v_fmac_f32_e32 v24, 0xbf788fa5, v6
	v_fmac_f32_e32 v31, 0xbeb58ec6, v26
	v_add_f32_e32 v3, v7, v3
	v_fma_f32 v7, v12, s7, -v36
	v_add_f32_e32 v32, v24, v2
	v_mul_f32_e32 v2, 0xbf6f5d39, v9
	v_add_f32_e32 v21, v31, v21
	v_mov_b32_e32 v31, v33
	v_add_f32_e32 v33, v7, v3
	v_fma_f32 v3, v22, s3, -v2
	v_mul_f32_e32 v14, 0xbe750f2a, v11
	v_add_f32_e32 v3, v3, v39
	v_mul_f32_e32 v7, 0xbf6f5d39, v8
	v_fma_f32 v15, v54, s7, -v14
	v_mov_b32_e32 v13, v7
	v_add_f32_e32 v3, v15, v3
	v_mul_f32_e32 v15, 0xbe750f2a, v10
	v_fmac_f32_e32 v31, 0xbf3f9e67, v34
	v_fmac_f32_e32 v13, 0xbeb58ec6, v23
	v_mov_b32_e32 v20, v15
	v_add_f32_e32 v21, v31, v21
	v_mov_b32_e32 v31, v36
	v_add_f32_e32 v13, v13, v41
	v_fmac_f32_e32 v20, 0xbf788fa5, v55
	v_fmac_f32_e32 v31, 0xbf788fa5, v12
	v_add_f32_e32 v13, v20, v13
	v_mul_f32_e32 v20, 0x3f29c268, v17
	v_add_f32_e32 v31, v31, v21
	v_fma_f32 v21, v27, s6, -v20
	v_add_f32_e32 v3, v21, v3
	v_mul_f32_e32 v21, 0x3f29c268, v16
	v_mov_b32_e32 v24, v21
	v_fmac_f32_e32 v24, 0xbf3f9e67, v26
	v_add_f32_e32 v13, v24, v13
	v_mul_f32_e32 v24, 0x3f7e222b, v19
	v_fma_f32 v25, v35, s0, -v24
	v_add_f32_e32 v3, v25, v3
	v_mul_f32_e32 v25, 0x3f7e222b, v18
	v_mov_b32_e32 v36, v25
	v_fmac_f32_e32 v36, 0x3df6dbef, v34
	v_mul_f32_e32 v39, 0x3eedf032, v1
	v_add_f32_e32 v13, v36, v13
	v_fma_f32 v36, v6, s2, -v39
	v_fmac_f32_e32 v2, 0xbeb58ec6, v22
	v_add_f32_e32 v36, v36, v3
	v_add_f32_e32 v2, v2, v49
	v_fma_f32 v3, v23, s3, -v7
	v_fmac_f32_e32 v14, 0xbf788fa5, v54
	v_add_f32_e32 v3, v3, v40
	;; [unrolled: 4-line block ×3, first 2 shown]
	v_add_f32_e32 v2, v20, v2
	v_fma_f32 v7, v26, s6, -v21
	v_fmac_f32_e32 v24, 0x3df6dbef, v35
	v_mul_f32_e32 v38, 0x3eedf032, v0
	v_add_f32_e32 v3, v7, v3
	v_add_f32_e32 v2, v24, v2
	v_fma_f32 v7, v34, s0, -v25
	v_fmac_f32_e32 v39, 0x3f62ad3f, v6
	v_mov_b32_e32 v37, v38
	v_add_f32_e32 v3, v7, v3
	v_fma_f32 v7, v12, s2, -v38
	v_add_f32_e32 v42, v39, v2
	v_mul_f32_e32 v2, 0xbe750f2a, v9
	v_fmac_f32_e32 v37, 0x3f62ad3f, v12
	v_add_f32_e32 v43, v7, v3
	v_fma_f32 v3, v22, s7, -v2
	v_mul_f32_e32 v7, 0x3f6f5d39, v11
	v_add_f32_e32 v37, v37, v13
	v_add_f32_e32 v3, v3, v50
	v_fma_f32 v13, v54, s3, -v7
	v_add_f32_e32 v3, v13, v3
	v_mul_f32_e32 v13, 0x3eedf032, v17
	v_fma_f32 v14, v27, s2, -v13
	v_add_f32_e32 v3, v14, v3
	v_mul_f32_e32 v14, 0xbf52af12, v19
	;; [unrolled: 3-line block ×4, first 2 shown]
	v_fmac_f32_e32 v2, 0xbf788fa5, v22
	v_mov_b32_e32 v20, v3
	v_mul_f32_e32 v21, 0x3f6f5d39, v10
	v_add_f32_e32 v2, v2, v52
	v_fmac_f32_e32 v7, 0xbeb58ec6, v54
	v_fmac_f32_e32 v20, 0xbf788fa5, v23
	v_mov_b32_e32 v24, v21
	v_add_f32_e32 v2, v7, v2
	v_fmac_f32_e32 v13, 0x3f62ad3f, v27
	v_add_f32_e32 v20, v20, v51
	v_fmac_f32_e32 v24, 0xbeb58ec6, v55
	;; [unrolled: 2-line block ×3, first 2 shown]
	v_add_f32_e32 v20, v24, v20
	v_mul_f32_e32 v24, 0x3eedf032, v16
	v_add_f32_e32 v2, v14, v2
	v_fmac_f32_e32 v15, 0xbf3f9e67, v6
	v_mov_b32_e32 v25, v24
	v_add_f32_e32 v40, v15, v2
	v_fma_f32 v2, v23, s7, -v3
	v_fmac_f32_e32 v25, 0x3f62ad3f, v26
	v_add_f32_e32 v2, v2, v53
	v_fma_f32 v3, v55, s3, -v21
	v_add_f32_e32 v20, v25, v20
	v_mul_f32_e32 v25, 0xbf52af12, v18
	v_add_f32_e32 v2, v3, v2
	v_fma_f32 v3, v26, s2, -v24
	v_mov_b32_e32 v39, v25
	v_mul_f32_e32 v41, 0xbf29c268, v0
	v_add_f32_e32 v2, v3, v2
	v_fma_f32 v3, v34, s1, -v25
	v_fmac_f32_e32 v39, 0x3f116cb1, v34
	v_add_f32_e32 v2, v3, v2
	v_fma_f32 v3, v12, s6, -v41
	v_add_f32_e32 v20, v39, v20
	v_mov_b32_e32 v39, v41
	v_add_f32_e32 v41, v3, v2
	v_mul_f32_e32 v2, 0x3f29c268, v9
	v_fma_f32 v3, v22, s6, -v2
	v_mul_f32_e32 v14, 0x3eedf032, v11
	v_add_f32_e32 v3, v3, v56
	v_mul_f32_e32 v7, 0x3f29c268, v8
	v_fma_f32 v15, v54, s2, -v14
	v_fmac_f32_e32 v39, 0xbf3f9e67, v12
	v_mov_b32_e32 v13, v7
	v_add_f32_e32 v3, v15, v3
	v_mul_f32_e32 v15, 0x3eedf032, v10
	v_add_f32_e32 v39, v39, v20
	v_fmac_f32_e32 v13, 0xbf3f9e67, v23
	v_mov_b32_e32 v20, v15
	v_add_f32_e32 v13, v13, v45
	v_fmac_f32_e32 v20, 0x3f62ad3f, v55
	v_add_f32_e32 v13, v20, v13
	v_mul_f32_e32 v20, 0xbf7e222b, v17
	v_fma_f32 v21, v27, s0, -v20
	v_add_f32_e32 v3, v21, v3
	v_mul_f32_e32 v21, 0xbf7e222b, v16
	v_mov_b32_e32 v24, v21
	v_fmac_f32_e32 v24, 0x3df6dbef, v26
	v_add_f32_e32 v13, v24, v13
	v_mul_f32_e32 v24, 0x3e750f2a, v19
	v_fma_f32 v25, v35, s7, -v24
	v_add_f32_e32 v3, v25, v3
	v_mul_f32_e32 v25, 0x3e750f2a, v18
	v_mov_b32_e32 v44, v25
	v_fmac_f32_e32 v44, 0xbf788fa5, v34
	v_mul_f32_e32 v48, 0x3f52af12, v1
	v_add_f32_e32 v13, v44, v13
	v_fma_f32 v44, v6, s1, -v48
	v_fmac_f32_e32 v2, 0xbf3f9e67, v22
	v_add_f32_e32 v44, v44, v3
	v_add_f32_e32 v2, v2, v57
	v_fma_f32 v3, v23, s6, -v7
	v_fmac_f32_e32 v14, 0x3f62ad3f, v54
	v_add_f32_e32 v3, v3, v58
	;; [unrolled: 4-line block ×3, first 2 shown]
	v_add_f32_e32 v2, v20, v2
	v_fma_f32 v7, v26, s0, -v21
	v_fmac_f32_e32 v24, 0xbf788fa5, v35
	v_mul_f32_e32 v46, 0x3f52af12, v0
	v_add_f32_e32 v3, v7, v3
	v_add_f32_e32 v2, v24, v2
	v_fma_f32 v7, v34, s7, -v25
	v_fmac_f32_e32 v48, 0x3f116cb1, v6
	v_mov_b32_e32 v45, v46
	v_add_f32_e32 v3, v7, v3
	v_fma_f32 v7, v12, s1, -v46
	v_add_f32_e32 v50, v48, v2
	v_mul_f32_e32 v2, 0x3f7e222b, v9
	v_fmac_f32_e32 v45, 0x3f116cb1, v12
	v_add_f32_e32 v51, v7, v3
	v_fma_f32 v3, v22, s0, -v2
	v_mul_f32_e32 v7, 0xbf52af12, v11
	v_add_f32_e32 v45, v45, v13
	v_add_f32_e32 v3, v3, v59
	v_fma_f32 v13, v54, s1, -v7
	v_add_f32_e32 v3, v13, v3
	v_mul_f32_e32 v13, 0x3e750f2a, v17
	v_fma_f32 v14, v27, s7, -v13
	v_add_f32_e32 v3, v14, v3
	v_mul_f32_e32 v14, 0x3eedf032, v19
	;; [unrolled: 3-line block ×4, first 2 shown]
	v_fmac_f32_e32 v2, 0x3df6dbef, v22
	v_mov_b32_e32 v20, v3
	v_mul_f32_e32 v21, 0xbf52af12, v10
	v_add_f32_e32 v2, v2, v60
	v_fmac_f32_e32 v7, 0x3f116cb1, v54
	v_fmac_f32_e32 v20, 0x3df6dbef, v23
	v_mov_b32_e32 v24, v21
	v_add_f32_e32 v2, v7, v2
	v_fmac_f32_e32 v13, 0xbf788fa5, v27
	v_add_f32_e32 v20, v20, v47
	v_fmac_f32_e32 v24, 0x3f116cb1, v55
	;; [unrolled: 2-line block ×3, first 2 shown]
	v_add_f32_e32 v20, v24, v20
	v_mul_f32_e32 v24, 0x3e750f2a, v16
	v_add_f32_e32 v2, v14, v2
	v_fmac_f32_e32 v15, 0xbeb58ec6, v6
	v_mov_b32_e32 v25, v24
	v_add_f32_e32 v48, v15, v2
	v_fma_f32 v2, v23, s0, -v3
	v_fmac_f32_e32 v25, 0xbf788fa5, v26
	v_add_f32_e32 v2, v2, v61
	v_fma_f32 v3, v55, s1, -v21
	v_add_f32_e32 v20, v25, v20
	v_mul_f32_e32 v25, 0x3eedf032, v18
	v_add_f32_e32 v2, v3, v2
	v_fma_f32 v3, v26, s7, -v24
	v_mov_b32_e32 v47, v25
	v_mul_f32_e32 v49, 0xbf6f5d39, v0
	v_add_f32_e32 v2, v3, v2
	v_fma_f32 v3, v34, s2, -v25
	v_fmac_f32_e32 v47, 0x3f62ad3f, v34
	v_add_f32_e32 v2, v3, v2
	v_fma_f32 v3, v12, s3, -v49
	v_add_f32_e32 v20, v47, v20
	v_mov_b32_e32 v47, v49
	v_add_f32_e32 v49, v3, v2
	v_mul_f32_e32 v2, 0x3eedf032, v9
	v_fma_f32 v3, v22, s2, -v2
	v_mul_f32_e32 v7, 0x3eedf032, v8
	v_mul_f32_e32 v9, 0xbf29c268, v11
	v_add_f32_e32 v3, v3, v62
	v_mov_b32_e32 v8, v7
	v_fma_f32 v11, v54, s6, -v9
	v_mul_f32_e32 v10, 0xbf29c268, v10
	v_fmac_f32_e32 v8, 0x3f62ad3f, v23
	v_add_f32_e32 v3, v11, v3
	v_mov_b32_e32 v11, v10
	v_add_f32_e32 v8, v8, v63
	v_fmac_f32_e32 v11, 0xbf3f9e67, v55
	v_add_f32_e32 v8, v11, v8
	v_mul_f32_e32 v11, 0x3f52af12, v17
	v_fma_f32 v13, v27, s1, -v11
	v_add_f32_e32 v3, v13, v3
	v_mul_f32_e32 v13, 0x3f52af12, v16
	v_mov_b32_e32 v14, v13
	v_fmac_f32_e32 v2, 0x3f62ad3f, v22
	v_fmac_f32_e32 v14, 0x3f116cb1, v26
	v_add_f32_e32 v2, v2, v4
	v_fmac_f32_e32 v9, 0xbf3f9e67, v54
	v_add_f32_e32 v8, v14, v8
	v_mul_f32_e32 v14, 0xbf6f5d39, v19
	v_add_f32_e32 v2, v9, v2
	v_fmac_f32_e32 v11, 0x3f116cb1, v27
	v_fma_f32 v15, v35, s3, -v14
	v_mul_f32_e32 v1, 0x3f7e222b, v1
	v_add_f32_e32 v2, v11, v2
	v_fmac_f32_e32 v14, 0xbeb58ec6, v35
	v_fma_f32 v17, v6, s0, -v1
	v_add_f32_e32 v2, v14, v2
	v_fmac_f32_e32 v1, 0x3df6dbef, v6
	v_add_f32_e32 v54, v1, v2
	v_fma_f32 v1, v23, s2, -v7
	v_add_f32_e32 v1, v1, v5
	v_fma_f32 v2, v55, s6, -v10
	v_add_f32_e32 v3, v15, v3
	v_mul_f32_e32 v15, 0xbf6f5d39, v18
	v_add_f32_e32 v1, v2, v1
	v_fma_f32 v2, v26, s1, -v13
	v_mov_b32_e32 v16, v15
	v_add_f32_e32 v1, v2, v1
	v_fma_f32 v2, v34, s3, -v15
	s_load_dwordx2 s[2:3], s[4:5], 0x8
	v_fmac_f32_e32 v16, 0xbeb58ec6, v34
	v_mul_f32_e32 v0, 0x3f7e222b, v0
	v_add_f32_e32 v8, v16, v8
	v_mov_b32_e32 v16, v0
	v_fmac_f32_e32 v47, 0xbeb58ec6, v12
	v_fmac_f32_e32 v16, 0x3df6dbef, v12
	v_add_f32_e32 v1, v2, v1
	v_fma_f32 v0, v12, s0, -v0
	v_add_f32_e32 v47, v47, v20
	v_add_f32_e32 v52, v17, v3
	;; [unrolled: 1-line block ×4, first 2 shown]
	v_mul_lo_u16_e32 v77, 13, v74
	s_waitcnt lgkmcnt(0)
	s_barrier
	s_and_saveexec_b64 s[0:1], vcc
	s_cbranch_execz .LBB0_7
; %bb.6:
	v_lshlrev_b32_e32 v0, 3, v77
	ds_write2_b64 v0, v[28:29], v[30:31] offset1:1
	ds_write2_b64 v0, v[36:37], v[38:39] offset0:2 offset1:3
	ds_write2_b64 v0, v[44:45], v[46:47] offset0:4 offset1:5
	;; [unrolled: 1-line block ×5, first 2 shown]
	ds_write_b64 v0, v[32:33] offset:96
.LBB0_7:
	s_or_b64 exec, exec, s[0:1]
	s_load_dwordx2 s[4:5], s[4:5], 0x20
	s_movk_i32 s0, 0x41
	v_cmp_gt_u16_e64 s[0:1], s0, v74
	s_waitcnt lgkmcnt(0)
	s_barrier
	s_waitcnt lgkmcnt(0)
                                        ; implicit-def: $vgpr58
	s_and_saveexec_b64 s[6:7], s[0:1]
	s_cbranch_execz .LBB0_9
; %bb.8:
	v_add_u32_e32 v0, 0x800, v73
	ds_read2_b64 v[28:31], v73 offset1:65
	ds_read2_b64 v[36:39], v73 offset0:130 offset1:195
	ds_read2_b64 v[44:47], v0 offset0:4 offset1:69
	;; [unrolled: 1-line block ×3, first 2 shown]
	v_add_u32_e32 v0, 0x1000, v73
	ds_read2_b64 v[48:51], v0 offset0:8 offset1:73
	ds_read2_b64 v[40:43], v0 offset0:138 offset1:203
	v_add_u32_e32 v0, 0x1800, v73
	ds_read2_b64 v[32:35], v0 offset0:12 offset1:77
	ds_read2_b64 v[56:59], v0 offset0:142 offset1:207
.LBB0_9:
	s_or_b64 exec, exec, s[6:7]
	s_movk_i32 s6, 0x4f
	v_mul_lo_u16_sdwa v0, v74, s6 dst_sel:DWORD dst_unused:UNUSED_PAD src0_sel:BYTE_0 src1_sel:DWORD
	v_lshrrev_b16_e32 v75, 10, v0
	v_mul_lo_u16_e32 v0, 13, v75
	v_sub_u16_e32 v0, v74, v0
	v_and_b32_e32 v76, 0xff, v0
	v_mov_b32_e32 v0, s2
	s_movk_i32 s6, 0x78
	v_mov_b32_e32 v1, s3
	v_mad_u64_u32 v[60:61], s[6:7], v76, s6, v[0:1]
	global_load_dwordx4 v[8:11], v[60:61], off
	global_load_dwordx4 v[4:7], v[60:61], off offset:16
	global_load_dwordx4 v[12:15], v[60:61], off offset:32
	global_load_dwordx4 v[0:3], v[60:61], off offset:48
	global_load_dwordx4 v[16:19], v[60:61], off offset:64
	global_load_dwordx4 v[20:23], v[60:61], off offset:80
	global_load_dwordx4 v[24:27], v[60:61], off offset:96
	global_load_dwordx2 v[71:72], v[60:61], off offset:112
	s_waitcnt vmcnt(0) lgkmcnt(0)
	s_barrier
	v_mul_f32_e32 v60, v37, v11
	v_mul_f32_e32 v63, v38, v5
	;; [unrolled: 1-line block ×17, first 2 shown]
	v_fmac_f32_e32 v63, v39, v4
	v_fmac_f32_e32 v65, v45, v6
	v_fma_f32 v39, v46, v12, -v66
	v_fma_f32 v46, v48, v2, -v80
	v_fmac_f32_e32 v89, v33, v22
	v_mul_f32_e32 v68, v53, v15
	v_mul_f32_e32 v85, v40, v19
	;; [unrolled: 1-line block ×6, first 2 shown]
	v_fma_f32 v36, v36, v10, -v60
	v_fmac_f32_e32 v61, v37, v10
	v_fma_f32 v37, v38, v4, -v62
	v_fma_f32 v38, v44, v6, -v64
	v_fmac_f32_e32 v69, v53, v14
	v_fmac_f32_e32 v81, v49, v2
	v_fma_f32 v40, v40, v18, -v84
	v_fmac_f32_e32 v87, v43, v20
	v_fma_f32 v32, v32, v22, -v88
	v_fmac_f32_e32 v93, v57, v26
	v_fmac_f32_e32 v97, v31, v8
	v_sub_f32_e32 v31, v28, v46
	v_sub_f32_e32 v43, v65, v89
	v_mul_f32_e32 v91, v34, v25
	v_fma_f32 v44, v52, v14, -v68
	v_fmac_f32_e32 v85, v41, v18
	v_fma_f32 v41, v42, v20, -v86
	v_fma_f32 v33, v34, v24, -v90
	;; [unrolled: 1-line block ×3, first 2 shown]
	v_sub_f32_e32 v42, v29, v81
	v_sub_f32_e32 v32, v38, v32
	;; [unrolled: 1-line block ×4, first 2 shown]
	v_fma_f32 v49, v65, 2.0, -v43
	v_sub_f32_e32 v43, v31, v43
	v_mul_f32_e32 v78, v55, v1
	v_sub_f32_e32 v46, v61, v85
	v_sub_f32_e32 v34, v44, v34
	v_fma_f32 v28, v28, 2.0, -v31
	v_fma_f32 v38, v38, 2.0, -v32
	v_add_f32_e32 v53, v42, v32
	v_fma_f32 v32, v31, 2.0, -v43
	v_sub_f32_e32 v31, v40, v48
	v_mul_f32_e32 v79, v54, v1
	v_mul_f32_e32 v82, v51, v17
	v_fma_f32 v45, v54, v0, -v78
	v_fma_f32 v29, v29, 2.0, -v42
	v_fma_f32 v36, v36, 2.0, -v40
	;; [unrolled: 1-line block ×4, first 2 shown]
	v_add_f32_e32 v34, v46, v34
	v_fma_f32 v40, v40, 2.0, -v31
	v_mov_b32_e32 v54, v32
	v_mul_f32_e32 v83, v50, v17
	v_fmac_f32_e32 v67, v47, v12
	v_fmac_f32_e32 v79, v55, v0
	v_fma_f32 v47, v50, v16, -v82
	v_fma_f32 v50, v61, 2.0, -v46
	v_fma_f32 v46, v46, 2.0, -v34
	v_fmac_f32_e32 v54, 0xbf3504f3, v40
	v_mov_b32_e32 v55, v42
	v_mov_b32_e32 v60, v53
	v_mul_f32_e32 v95, v58, v72
	v_fmac_f32_e32 v91, v35, v24
	v_fma_f32 v30, v30, v8, -v96
	v_fmac_f32_e32 v55, 0xbf3504f3, v46
	v_fmac_f32_e32 v54, 0xbf3504f3, v46
	v_mov_b32_e32 v46, v43
	v_fmac_f32_e32 v60, 0x3f3504f3, v34
	v_mul_f32_e32 v94, v59, v72
	v_fmac_f32_e32 v83, v51, v16
	v_fmac_f32_e32 v95, v59, v71
	;; [unrolled: 1-line block ×4, first 2 shown]
	v_sub_f32_e32 v31, v30, v47
	v_sub_f32_e32 v47, v67, v91
	v_fma_f32 v35, v58, v71, -v94
	v_fma_f32 v51, v69, 2.0, -v48
	v_fmac_f32_e32 v46, 0xbf3504f3, v34
	v_sub_f32_e32 v34, v97, v83
	v_sub_f32_e32 v33, v39, v33
	v_fma_f32 v48, v67, 2.0, -v47
	v_sub_f32_e32 v41, v37, v41
	v_sub_f32_e32 v57, v79, v95
	;; [unrolled: 1-line block ×3, first 2 shown]
	v_fma_f32 v30, v30, 2.0, -v31
	v_sub_f32_e32 v52, v63, v87
	v_sub_f32_e32 v35, v45, v35
	v_add_f32_e32 v59, v34, v33
	v_fma_f32 v61, v31, 2.0, -v47
	v_sub_f32_e32 v31, v41, v57
	v_fmac_f32_e32 v55, 0x3f3504f3, v40
	v_fma_f32 v40, v97, 2.0, -v34
	v_fma_f32 v39, v39, 2.0, -v33
	;; [unrolled: 1-line block ×4, first 2 shown]
	v_add_f32_e32 v33, v52, v35
	v_fma_f32 v35, v41, 2.0, -v31
	v_mov_b32_e32 v62, v61
	v_fma_f32 v37, v37, 2.0, -v41
	v_fma_f32 v56, v63, 2.0, -v52
	;; [unrolled: 1-line block ×3, first 2 shown]
	v_fmac_f32_e32 v62, 0xbf3504f3, v35
	v_mov_b32_e32 v63, v34
	v_mov_b32_e32 v65, v59
	v_fma_f32 v58, v79, 2.0, -v57
	v_fmac_f32_e32 v63, 0xbf3504f3, v41
	v_fmac_f32_e32 v62, 0xbf3504f3, v41
	v_mov_b32_e32 v64, v47
	v_fmac_f32_e32 v65, 0x3f3504f3, v33
	v_sub_f32_e32 v41, v36, v44
	v_fmac_f32_e32 v63, 0x3f3504f3, v35
	v_fmac_f32_e32 v64, 0x3f3504f3, v31
	;; [unrolled: 1-line block ×3, first 2 shown]
	v_sub_f32_e32 v35, v28, v38
	v_sub_f32_e32 v38, v29, v49
	;; [unrolled: 1-line block ×3, first 2 shown]
	v_fma_f32 v31, v36, 2.0, -v41
	v_sub_f32_e32 v36, v30, v39
	v_sub_f32_e32 v39, v40, v48
	;; [unrolled: 1-line block ×4, first 2 shown]
	v_fmac_f32_e32 v64, 0xbf3504f3, v33
	v_fma_f32 v28, v28, 2.0, -v35
	v_fma_f32 v29, v29, 2.0, -v38
	v_fma_f32 v33, v50, 2.0, -v44
	v_fma_f32 v48, v30, 2.0, -v36
	v_fma_f32 v40, v40, 2.0, -v39
	v_fma_f32 v37, v37, 2.0, -v45
	v_fma_f32 v49, v56, 2.0, -v52
	v_sub_f32_e32 v30, v28, v31
	v_sub_f32_e32 v31, v29, v33
	;; [unrolled: 1-line block ×4, first 2 shown]
	v_fma_f32 v28, v28, 2.0, -v30
	v_fma_f32 v29, v29, 2.0, -v31
	;; [unrolled: 1-line block ×5, first 2 shown]
	v_sub_f32_e32 v48, v28, v33
	v_sub_f32_e32 v49, v29, v40
	v_fma_f32 v33, v42, 2.0, -v55
	v_fma_f32 v40, v61, 2.0, -v62
	v_mov_b32_e32 v50, v32
	v_fma_f32 v34, v34, 2.0, -v63
	v_fmac_f32_e32 v50, 0xbf6c835e, v40
	v_mov_b32_e32 v51, v33
	v_sub_f32_e32 v42, v35, v44
	v_add_f32_e32 v61, v38, v41
	v_fmac_f32_e32 v51, 0xbf6c835e, v34
	v_fmac_f32_e32 v50, 0xbec3ef15, v34
	v_fma_f32 v34, v35, 2.0, -v42
	v_fma_f32 v35, v38, 2.0, -v61
	v_add_f32_e32 v45, v39, v45
	v_sub_f32_e32 v44, v36, v52
	v_fma_f32 v38, v39, 2.0, -v45
	v_mov_b32_e32 v57, v35
	v_fmac_f32_e32 v51, 0x3ec3ef15, v40
	v_fma_f32 v36, v36, 2.0, -v44
	v_mov_b32_e32 v56, v34
	v_fmac_f32_e32 v57, 0xbf3504f3, v38
	;; [unrolled: 3-line block ×3, first 2 shown]
	v_fmac_f32_e32 v57, 0x3f3504f3, v36
	v_fma_f32 v53, v53, 2.0, -v60
	v_fma_f32 v36, v47, 2.0, -v64
	v_mov_b32_e32 v58, v52
	v_fmac_f32_e32 v40, 0x3f3504f3, v44
	v_mov_b32_e32 v41, v61
	v_fmac_f32_e32 v56, 0xbf3504f3, v38
	v_fma_f32 v38, v59, 2.0, -v65
	v_fmac_f32_e32 v58, 0xbec3ef15, v36
	v_mov_b32_e32 v59, v53
	v_fmac_f32_e32 v41, 0x3f3504f3, v45
	v_fmac_f32_e32 v40, 0xbf3504f3, v45
	;; [unrolled: 1-line block ×4, first 2 shown]
	v_mov_b32_e32 v38, v54
	v_mov_b32_e32 v39, v55
	v_fmac_f32_e32 v41, 0x3f3504f3, v44
	v_fma_f32 v44, v42, 2.0, -v40
	v_mov_b32_e32 v42, v46
	v_mov_b32_e32 v43, v60
	v_fmac_f32_e32 v38, 0x3ec3ef15, v62
	v_fmac_f32_e32 v39, 0x3ec3ef15, v63
	;; [unrolled: 1-line block ×9, first 2 shown]
	v_sub_f32_e32 v36, v30, v66
	v_add_f32_e32 v37, v31, v37
	v_fma_f32 v54, v54, 2.0, -v38
	v_fma_f32 v55, v55, 2.0, -v39
	;; [unrolled: 1-line block ×5, first 2 shown]
	s_and_saveexec_b64 s[6:7], s[0:1]
	s_cbranch_execz .LBB0_11
; %bb.10:
	v_mul_u32_u24_e32 v60, 0xd0, v75
	v_or_b32_e32 v60, v60, v76
	v_fma_f32 v33, v33, 2.0, -v51
	v_fma_f32 v32, v32, 2.0, -v50
	;; [unrolled: 1-line block ×4, first 2 shown]
	v_lshlrev_b32_e32 v60, 3, v60
	v_fma_f32 v31, v31, 2.0, -v37
	v_fma_f32 v30, v30, 2.0, -v36
	;; [unrolled: 1-line block ×6, first 2 shown]
	ds_write2_b64 v60, v[28:29], v[32:33] offset1:13
	ds_write2_b64 v60, v[34:35], v[52:53] offset0:26 offset1:39
	ds_write2_b64 v60, v[30:31], v[54:55] offset0:52 offset1:65
	;; [unrolled: 1-line block ×7, first 2 shown]
.LBB0_11:
	s_or_b64 exec, exec, s[6:7]
	v_lshlrev_b32_e32 v52, 5, v74
	s_load_dwordx4 s[4:7], s[4:5], 0x0
	s_waitcnt lgkmcnt(0)
	s_barrier
	global_load_dwordx4 v[32:35], v52, s[2:3] offset:1560
	global_load_dwordx4 v[28:31], v52, s[2:3] offset:1576
	v_add_u32_e32 v78, 0xc00, v73
	ds_read2_b64 v[60:63], v73 offset1:208
	ds_read2_b64 v[64:67], v78 offset0:32 offset1:240
	ds_read_b64 v[52:53], v73 offset:6656
	s_waitcnt vmcnt(1) lgkmcnt(2)
	v_mul_f32_e32 v68, v63, v33
	v_mul_f32_e32 v69, v62, v33
	s_waitcnt lgkmcnt(1)
	v_mul_f32_e32 v79, v65, v35
	v_mul_f32_e32 v80, v64, v35
	s_waitcnt vmcnt(0)
	v_mul_f32_e32 v81, v67, v29
	v_mul_f32_e32 v82, v66, v29
	s_waitcnt lgkmcnt(0)
	v_mul_f32_e32 v83, v53, v31
	v_mul_f32_e32 v84, v52, v31
	v_fma_f32 v62, v62, v32, -v68
	v_fmac_f32_e32 v69, v63, v32
	v_fma_f32 v63, v64, v34, -v79
	v_fmac_f32_e32 v80, v65, v34
	;; [unrolled: 2-line block ×4, first 2 shown]
	v_add_f32_e32 v52, v60, v62
	v_add_f32_e32 v53, v63, v66
	v_sub_f32_e32 v64, v62, v63
	v_sub_f32_e32 v65, v67, v66
	v_add_f32_e32 v68, v62, v67
	v_add_f32_e32 v87, v80, v82
	;; [unrolled: 1-line block ×3, first 2 shown]
	v_sub_f32_e32 v79, v69, v84
	v_sub_f32_e32 v83, v63, v62
	;; [unrolled: 1-line block ×3, first 2 shown]
	v_add_f32_e32 v86, v61, v69
	v_sub_f32_e32 v88, v62, v67
	v_sub_f32_e32 v89, v63, v66
	;; [unrolled: 1-line block ×6, first 2 shown]
	v_add_f32_e32 v63, v52, v63
	v_fma_f32 v52, -0.5, v53, v60
	v_add_f32_e32 v93, v64, v65
	v_fma_f32 v64, -0.5, v68, v60
	v_fma_f32 v53, -0.5, v87, v61
	;; [unrolled: 1-line block ×3, first 2 shown]
	v_sub_f32_e32 v81, v80, v82
	v_add_f32_e32 v60, v83, v85
	v_add_f32_e32 v83, v62, v90
	;; [unrolled: 1-line block ×4, first 2 shown]
	v_mov_b32_e32 v68, v52
	v_mov_b32_e32 v62, v64
	;; [unrolled: 1-line block ×4, first 2 shown]
	v_add_f32_e32 v80, v86, v80
	v_fmac_f32_e32 v52, 0xbf737871, v79
	v_fmac_f32_e32 v64, 0x3f737871, v81
	;; [unrolled: 1-line block ×8, first 2 shown]
	v_add_f32_e32 v80, v80, v82
	v_fmac_f32_e32 v52, 0xbf167918, v81
	v_fmac_f32_e32 v64, 0xbf167918, v79
	;; [unrolled: 1-line block ×8, first 2 shown]
	v_add_f32_e32 v66, v66, v67
	v_add_f32_e32 v67, v80, v84
	v_fmac_f32_e32 v52, 0x3e9e377a, v93
	v_fmac_f32_e32 v64, 0x3e9e377a, v60
	;; [unrolled: 1-line block ×8, first 2 shown]
	ds_write_b64 v73, v[52:53] offset:6656
	ds_write2_b64 v73, v[66:67], v[68:69] offset1:208
	ds_write2_b64 v78, v[62:63], v[64:65] offset0:32 offset1:240
	s_waitcnt lgkmcnt(0)
	s_barrier
	s_and_saveexec_b64 s[8:9], vcc
	s_cbranch_execz .LBB0_13
; %bb.12:
	s_add_u32 s10, s14, 0x2080
	s_addc_u32 s11, s15, 0
	v_add_co_u32_e64 v84, s[2:3], s10, v73
	v_mov_b32_e32 v78, s11
	ds_read_b64 v[60:61], v73
	v_addc_co_u32_e64 v85, s[2:3], 0, v78, s[2:3]
	global_load_dwordx2 v[78:79], v73, s[10:11]
	v_add_u32_e32 v86, 0x400, v73
	s_movk_i32 s2, 0x1000
	s_waitcnt vmcnt(0) lgkmcnt(0)
	v_mul_f32_e32 v80, v61, v79
	v_mul_f32_e32 v81, v60, v79
	v_fma_f32 v80, v60, v78, -v80
	v_fmac_f32_e32 v81, v61, v78
	global_load_dwordx2 v[60:61], v73, s[10:11] offset:640
	ds_write_b64 v73, v[80:81]
	ds_read2_b64 v[78:81], v73 offset0:80 offset1:160
	s_waitcnt vmcnt(0) lgkmcnt(0)
	v_mul_f32_e32 v82, v79, v61
	v_mul_f32_e32 v83, v78, v61
	v_fma_f32 v82, v78, v60, -v82
	v_fmac_f32_e32 v83, v79, v60
	global_load_dwordx2 v[60:61], v73, s[10:11] offset:1280
	s_waitcnt vmcnt(0)
	v_mul_f32_e32 v78, v81, v61
	v_mul_f32_e32 v79, v80, v61
	v_fma_f32 v78, v80, v60, -v78
	v_fmac_f32_e32 v79, v81, v60
	global_load_dwordx2 v[60:61], v73, s[10:11] offset:1920
	ds_write2_b64 v73, v[82:83], v[78:79] offset0:80 offset1:160
	ds_read2_b64 v[78:81], v86 offset0:112 offset1:192
	s_waitcnt vmcnt(0) lgkmcnt(0)
	v_mul_f32_e32 v82, v79, v61
	v_mul_f32_e32 v83, v78, v61
	v_fma_f32 v82, v78, v60, -v82
	v_fmac_f32_e32 v83, v79, v60
	global_load_dwordx2 v[60:61], v73, s[10:11] offset:2560
	s_waitcnt vmcnt(0)
	v_mul_f32_e32 v78, v81, v61
	v_mul_f32_e32 v79, v80, v61
	v_fma_f32 v78, v80, v60, -v78
	v_fmac_f32_e32 v79, v81, v60
	global_load_dwordx2 v[60:61], v73, s[10:11] offset:3200
	ds_write2_b64 v86, v[82:83], v[78:79] offset0:112 offset1:192
	v_add_u32_e32 v86, 0x800, v73
	ds_read2_b64 v[78:81], v86 offset0:144 offset1:224
	s_waitcnt vmcnt(0) lgkmcnt(0)
	v_mul_f32_e32 v82, v79, v61
	v_mul_f32_e32 v83, v78, v61
	v_fma_f32 v82, v78, v60, -v82
	v_fmac_f32_e32 v83, v79, v60
	global_load_dwordx2 v[60:61], v73, s[10:11] offset:3840
	s_waitcnt vmcnt(0)
	v_mul_f32_e32 v78, v81, v61
	v_mul_f32_e32 v79, v80, v61
	v_fma_f32 v78, v80, v60, -v78
	v_fmac_f32_e32 v79, v81, v60
	v_add_co_u32_e64 v60, s[2:3], s2, v84
	v_addc_co_u32_e64 v61, s[2:3], 0, v85, s[2:3]
	ds_write2_b64 v86, v[82:83], v[78:79] offset0:144 offset1:224
	global_load_dwordx2 v[82:83], v[60:61], off offset:384
	v_add_u32_e32 v86, 0x1000, v73
	ds_read2_b64 v[78:81], v86 offset0:48 offset1:128
	s_waitcnt vmcnt(0) lgkmcnt(0)
	v_mul_f32_e32 v84, v79, v83
	v_fma_f32 v84, v78, v82, -v84
	v_mul_f32_e32 v85, v78, v83
	v_or_b32_e32 v78, 0x1400, v73
	v_fmac_f32_e32 v85, v79, v82
	global_load_dwordx2 v[78:79], v78, s[10:11]
	s_waitcnt vmcnt(0)
	v_mul_f32_e32 v82, v81, v79
	v_mul_f32_e32 v83, v80, v79
	v_fma_f32 v82, v80, v78, -v82
	v_fmac_f32_e32 v83, v81, v78
	ds_write2_b64 v86, v[84:85], v[82:83] offset0:48 offset1:128
	global_load_dwordx2 v[82:83], v[60:61], off offset:1664
	v_add_u32_e32 v86, 0x1400, v73
	ds_read2_b64 v[78:81], v86 offset0:80 offset1:160
	s_waitcnt vmcnt(0) lgkmcnt(0)
	v_mul_f32_e32 v84, v79, v83
	v_mul_f32_e32 v85, v78, v83
	v_fma_f32 v84, v78, v82, -v84
	v_fmac_f32_e32 v85, v79, v82
	global_load_dwordx2 v[78:79], v[60:61], off offset:2304
	s_waitcnt vmcnt(0)
	v_mul_f32_e32 v82, v81, v79
	v_mul_f32_e32 v83, v80, v79
	v_fma_f32 v82, v80, v78, -v82
	v_fmac_f32_e32 v83, v81, v78
	ds_write2_b64 v86, v[84:85], v[82:83] offset0:80 offset1:160
	global_load_dwordx2 v[82:83], v[60:61], off offset:2944
	v_add_u32_e32 v86, 0x1800, v73
	global_load_dwordx2 v[60:61], v[60:61], off offset:3584
	ds_read2_b64 v[78:81], v86 offset0:112 offset1:192
	s_waitcnt vmcnt(1) lgkmcnt(0)
	v_mul_f32_e32 v84, v79, v83
	v_mul_f32_e32 v85, v78, v83
	v_fma_f32 v84, v78, v82, -v84
	v_fmac_f32_e32 v85, v79, v82
	s_waitcnt vmcnt(0)
	v_mul_f32_e32 v78, v81, v61
	v_mul_f32_e32 v79, v80, v61
	v_fma_f32 v78, v80, v60, -v78
	v_fmac_f32_e32 v79, v81, v60
	ds_write2_b64 v86, v[84:85], v[78:79] offset0:112 offset1:192
.LBB0_13:
	s_or_b64 exec, exec, s[8:9]
	s_waitcnt lgkmcnt(0)
	s_barrier
	s_and_saveexec_b64 s[2:3], vcc
	s_cbranch_execz .LBB0_15
; %bb.14:
	v_add_u32_e32 v36, 0x800, v73
	ds_read2_b64 v[66:69], v73 offset1:80
	ds_read2_b64 v[62:65], v73 offset0:160 offset1:240
	ds_read2_b64 v[52:55], v36 offset0:64 offset1:144
	v_add_u32_e32 v36, 0xc00, v73
	ds_read2_b64 v[44:47], v36 offset0:96 offset1:176
	v_add_u32_e32 v36, 0x1000, v73
	;; [unrolled: 2-line block ×3, first 2 shown]
	ds_read2_b64 v[56:59], v36 offset0:32 offset1:112
	ds_read_b64 v[36:37], v73 offset:7680
.LBB0_15:
	s_or_b64 exec, exec, s[2:3]
	s_waitcnt lgkmcnt(6)
	v_add_f32_e32 v61, v69, v67
	v_add_f32_e32 v60, v68, v66
	s_waitcnt lgkmcnt(5)
	v_add_f32_e32 v61, v63, v61
	v_add_f32_e32 v60, v62, v60
	v_add_f32_e32 v61, v65, v61
	v_add_f32_e32 v60, v64, v60
	s_waitcnt lgkmcnt(4)
	v_add_f32_e32 v61, v53, v61
	v_add_f32_e32 v60, v52, v60
	;; [unrolled: 5-line block ×5, first 2 shown]
	v_add_f32_e32 v61, v59, v61
	s_waitcnt lgkmcnt(0)
	v_add_f32_e32 v79, v37, v69
	v_add_f32_e32 v60, v58, v60
	;; [unrolled: 1-line block ×3, first 2 shown]
	v_sub_f32_e32 v37, v69, v37
	v_mul_f32_e32 v80, 0x3f62ad3f, v79
	v_mul_f32_e32 v84, 0x3f116cb1, v79
	;; [unrolled: 1-line block ×6, first 2 shown]
	v_add_f32_e32 v60, v36, v60
	v_add_f32_e32 v78, v36, v68
	v_sub_f32_e32 v36, v68, v36
	v_mul_f32_e32 v68, 0xbeedf032, v37
	v_mov_b32_e32 v81, v80
	v_mul_f32_e32 v82, 0xbf52af12, v37
	v_mov_b32_e32 v85, v84
	;; [unrolled: 2-line block ×6, first 2 shown]
	s_mov_b32 s8, 0x3f62ad3f
	v_mov_b32_e32 v69, v68
	v_fmac_f32_e32 v81, 0x3eedf032, v36
	v_fmac_f32_e32 v80, 0xbeedf032, v36
	s_mov_b32 s3, 0x3f116cb1
	v_mov_b32_e32 v83, v82
	v_fmac_f32_e32 v85, 0x3f52af12, v36
	v_fmac_f32_e32 v84, 0xbf52af12, v36
	;; [unrolled: 4-line block ×6, first 2 shown]
	v_fmac_f32_e32 v69, 0x3f62ad3f, v78
	v_add_f32_e32 v81, v67, v81
	v_fma_f32 v68, v78, s8, -v68
	v_add_f32_e32 v80, v67, v80
	v_fmac_f32_e32 v83, 0x3f116cb1, v78
	v_add_f32_e32 v85, v67, v85
	v_fma_f32 v82, v78, s3, -v82
	v_add_f32_e32 v84, v67, v84
	;; [unrolled: 4-line block ×6, first 2 shown]
	v_add_f32_e32 v67, v59, v63
	v_sub_f32_e32 v59, v63, v59
	v_add_f32_e32 v69, v66, v69
	v_add_f32_e32 v68, v66, v68
	;; [unrolled: 1-line block ×13, first 2 shown]
	v_sub_f32_e32 v58, v62, v58
	v_mul_f32_e32 v62, 0xbf52af12, v59
	v_mov_b32_e32 v63, v62
	v_fmac_f32_e32 v63, 0x3f116cb1, v66
	v_add_f32_e32 v63, v63, v69
	v_mul_f32_e32 v69, 0x3f116cb1, v67
	v_mov_b32_e32 v78, v69
	v_fma_f32 v62, v66, s3, -v62
	v_fmac_f32_e32 v69, 0xbf52af12, v58
	v_add_f32_e32 v62, v62, v68
	v_add_f32_e32 v68, v69, v80
	v_mul_f32_e32 v69, 0xbf6f5d39, v59
	v_mov_b32_e32 v79, v69
	v_fma_f32 v69, v66, s9, -v69
	v_fmac_f32_e32 v78, 0x3f52af12, v58
	v_fmac_f32_e32 v79, 0xbeb58ec6, v66
	v_mul_f32_e32 v80, 0xbeb58ec6, v67
	v_add_f32_e32 v69, v69, v82
	v_mul_f32_e32 v82, 0xbe750f2a, v59
	v_add_f32_e32 v78, v78, v81
	v_add_f32_e32 v79, v79, v83
	v_mov_b32_e32 v81, v80
	v_fmac_f32_e32 v80, 0xbf6f5d39, v58
	v_mov_b32_e32 v83, v82
	v_fma_f32 v82, v66, s11, -v82
	v_fmac_f32_e32 v81, 0x3f6f5d39, v58
	v_add_f32_e32 v80, v80, v84
	v_fmac_f32_e32 v83, 0xbf788fa5, v66
	v_mul_f32_e32 v84, 0xbf788fa5, v67
	v_add_f32_e32 v82, v82, v86
	v_mul_f32_e32 v86, 0x3f29c268, v59
	v_add_f32_e32 v81, v81, v85
	v_add_f32_e32 v83, v83, v87
	v_mov_b32_e32 v85, v84
	v_fmac_f32_e32 v84, 0xbe750f2a, v58
	v_mov_b32_e32 v87, v86
	v_fma_f32 v86, v66, s10, -v86
	v_fmac_f32_e32 v85, 0x3e750f2a, v58
	v_add_f32_e32 v84, v84, v88
	v_fmac_f32_e32 v87, 0xbf3f9e67, v66
	v_mul_f32_e32 v88, 0xbf3f9e67, v67
	v_add_f32_e32 v86, v86, v90
	v_mul_f32_e32 v90, 0x3f7e222b, v59
	v_add_f32_e32 v85, v85, v89
	v_add_f32_e32 v87, v87, v91
	v_mov_b32_e32 v89, v88
	v_fmac_f32_e32 v88, 0x3f29c268, v58
	v_mov_b32_e32 v91, v90
	v_fma_f32 v90, v66, s2, -v90
	v_mul_f32_e32 v59, 0x3eedf032, v59
	v_fmac_f32_e32 v89, 0xbf29c268, v58
	v_add_f32_e32 v88, v88, v92
	v_fmac_f32_e32 v91, 0x3df6dbef, v66
	v_mul_f32_e32 v92, 0x3df6dbef, v67
	v_add_f32_e32 v90, v90, v94
	v_mov_b32_e32 v94, v59
	v_mul_f32_e32 v67, 0x3f62ad3f, v67
	v_fma_f32 v59, v66, s8, -v59
	v_add_f32_e32 v89, v89, v93
	v_add_f32_e32 v91, v91, v95
	v_mov_b32_e32 v93, v92
	v_mov_b32_e32 v95, v67
	v_add_f32_e32 v37, v59, v37
	v_add_f32_e32 v59, v57, v65
	v_sub_f32_e32 v57, v65, v57
	v_fmac_f32_e32 v93, 0xbf7e222b, v58
	v_fmac_f32_e32 v92, 0x3f7e222b, v58
	;; [unrolled: 1-line block ×4, first 2 shown]
	v_add_f32_e32 v58, v56, v64
	v_sub_f32_e32 v56, v64, v56
	v_mul_f32_e32 v64, 0xbf7e222b, v57
	v_mov_b32_e32 v65, v64
	v_fmac_f32_e32 v65, 0x3df6dbef, v58
	v_add_f32_e32 v63, v65, v63
	v_mul_f32_e32 v65, 0x3df6dbef, v59
	v_fmac_f32_e32 v94, 0x3f62ad3f, v66
	v_mov_b32_e32 v66, v65
	v_fma_f32 v64, v58, s2, -v64
	v_fmac_f32_e32 v65, 0xbf7e222b, v56
	v_add_f32_e32 v62, v64, v62
	v_add_f32_e32 v64, v65, v68
	v_mul_f32_e32 v65, 0xbe750f2a, v57
	v_add_f32_e32 v36, v67, v36
	v_mov_b32_e32 v67, v65
	v_fma_f32 v65, v58, s11, -v65
	v_fmac_f32_e32 v66, 0x3f7e222b, v56
	v_fmac_f32_e32 v67, 0xbf788fa5, v58
	v_mul_f32_e32 v68, 0xbf788fa5, v59
	v_add_f32_e32 v65, v65, v69
	v_mul_f32_e32 v69, 0x3f6f5d39, v57
	v_add_f32_e32 v66, v66, v78
	v_add_f32_e32 v67, v67, v79
	v_mov_b32_e32 v78, v68
	v_fmac_f32_e32 v68, 0xbe750f2a, v56
	v_mov_b32_e32 v79, v69
	v_fma_f32 v69, v58, s9, -v69
	v_fmac_f32_e32 v78, 0x3e750f2a, v56
	v_add_f32_e32 v68, v68, v80
	v_fmac_f32_e32 v79, 0xbeb58ec6, v58
	v_mul_f32_e32 v80, 0xbeb58ec6, v59
	v_add_f32_e32 v69, v69, v82
	v_mul_f32_e32 v82, 0x3eedf032, v57
	v_add_f32_e32 v78, v78, v81
	v_add_f32_e32 v79, v79, v83
	v_mov_b32_e32 v81, v80
	v_fmac_f32_e32 v80, 0x3f6f5d39, v56
	v_mov_b32_e32 v83, v82
	v_fma_f32 v82, v58, s8, -v82
	v_fmac_f32_e32 v81, 0xbf6f5d39, v56
	v_add_f32_e32 v80, v80, v84
	v_fmac_f32_e32 v83, 0x3f62ad3f, v58
	v_mul_f32_e32 v84, 0x3f62ad3f, v59
	v_add_f32_e32 v82, v82, v86
	v_mul_f32_e32 v86, 0xbf52af12, v57
	v_add_f32_e32 v81, v81, v85
	v_add_f32_e32 v83, v83, v87
	v_mov_b32_e32 v85, v84
	v_fmac_f32_e32 v84, 0x3eedf032, v56
	v_mov_b32_e32 v87, v86
	v_fma_f32 v86, v58, s3, -v86
	v_mul_f32_e32 v57, 0xbf29c268, v57
	v_fmac_f32_e32 v85, 0xbeedf032, v56
	v_add_f32_e32 v84, v84, v88
	v_fmac_f32_e32 v87, 0x3f116cb1, v58
	v_mul_f32_e32 v88, 0x3f116cb1, v59
	v_add_f32_e32 v86, v86, v90
	v_mov_b32_e32 v90, v57
	v_mul_f32_e32 v59, 0xbf3f9e67, v59
	v_fma_f32 v57, v58, s10, -v57
	v_add_f32_e32 v85, v85, v89
	v_add_f32_e32 v87, v87, v91
	v_mov_b32_e32 v89, v88
	v_mov_b32_e32 v91, v59
	v_add_f32_e32 v37, v57, v37
	v_add_f32_e32 v57, v51, v53
	v_sub_f32_e32 v51, v53, v51
	v_fmac_f32_e32 v89, 0x3f52af12, v56
	v_fmac_f32_e32 v88, 0xbf52af12, v56
	;; [unrolled: 1-line block ×4, first 2 shown]
	v_add_f32_e32 v56, v50, v52
	v_sub_f32_e32 v50, v52, v50
	v_mul_f32_e32 v52, 0xbf6f5d39, v51
	v_mov_b32_e32 v53, v52
	v_fma_f32 v52, v56, s9, -v52
	v_fmac_f32_e32 v90, 0xbf3f9e67, v58
	v_fmac_f32_e32 v53, 0xbeb58ec6, v56
	v_mul_f32_e32 v58, 0xbeb58ec6, v57
	v_add_f32_e32 v52, v52, v62
	v_mul_f32_e32 v62, 0x3f29c268, v51
	v_add_f32_e32 v36, v59, v36
	v_add_f32_e32 v53, v53, v63
	v_mov_b32_e32 v59, v58
	v_fmac_f32_e32 v58, 0xbf6f5d39, v50
	v_mov_b32_e32 v63, v62
	v_fma_f32 v62, v56, s10, -v62
	v_fmac_f32_e32 v59, 0x3f6f5d39, v50
	v_add_f32_e32 v58, v58, v64
	v_fmac_f32_e32 v63, 0xbf3f9e67, v56
	v_mul_f32_e32 v64, 0xbf3f9e67, v57
	v_add_f32_e32 v62, v62, v65
	v_mul_f32_e32 v65, 0x3eedf032, v51
	v_add_f32_e32 v59, v59, v66
	v_add_f32_e32 v63, v63, v67
	v_mov_b32_e32 v66, v64
	v_fmac_f32_e32 v64, 0x3f29c268, v50
	v_mov_b32_e32 v67, v65
	v_fma_f32 v65, v56, s8, -v65
	v_fmac_f32_e32 v66, 0xbf29c268, v50
	v_add_f32_e32 v64, v64, v68
	v_fmac_f32_e32 v67, 0x3f62ad3f, v56
	v_mul_f32_e32 v68, 0x3f62ad3f, v57
	v_add_f32_e32 v65, v65, v69
	v_mul_f32_e32 v69, 0xbf7e222b, v51
	v_add_f32_e32 v66, v66, v78
	v_add_f32_e32 v67, v67, v79
	v_mov_b32_e32 v78, v68
	v_fmac_f32_e32 v68, 0x3eedf032, v50
	v_mov_b32_e32 v79, v69
	v_fma_f32 v69, v56, s2, -v69
	v_fmac_f32_e32 v78, 0xbeedf032, v50
	v_add_f32_e32 v68, v68, v80
	v_fmac_f32_e32 v79, 0x3df6dbef, v56
	v_mul_f32_e32 v80, 0x3df6dbef, v57
	v_add_f32_e32 v69, v69, v82
	v_mul_f32_e32 v82, 0x3e750f2a, v51
	v_add_f32_e32 v78, v78, v81
	v_add_f32_e32 v79, v79, v83
	v_mov_b32_e32 v81, v80
	v_fmac_f32_e32 v80, 0xbf7e222b, v50
	v_mov_b32_e32 v83, v82
	v_fma_f32 v82, v56, s11, -v82
	v_mul_f32_e32 v51, 0x3f52af12, v51
	v_fmac_f32_e32 v81, 0x3f7e222b, v50
	v_add_f32_e32 v80, v80, v84
	v_fmac_f32_e32 v83, 0xbf788fa5, v56
	v_mul_f32_e32 v84, 0xbf788fa5, v57
	v_add_f32_e32 v82, v82, v86
	v_mov_b32_e32 v86, v51
	v_mul_f32_e32 v57, 0x3f116cb1, v57
	v_fma_f32 v51, v56, s3, -v51
	v_add_f32_e32 v81, v81, v85
	v_add_f32_e32 v83, v83, v87
	v_mov_b32_e32 v85, v84
	v_mov_b32_e32 v87, v57
	v_add_f32_e32 v37, v51, v37
	v_add_f32_e32 v51, v49, v55
	v_sub_f32_e32 v49, v55, v49
	v_fmac_f32_e32 v85, 0xbe750f2a, v50
	v_fmac_f32_e32 v84, 0x3e750f2a, v50
	;; [unrolled: 1-line block ×4, first 2 shown]
	v_add_f32_e32 v50, v48, v54
	v_sub_f32_e32 v48, v54, v48
	v_mul_f32_e32 v54, 0xbf29c268, v49
	v_mov_b32_e32 v55, v54
	v_fmac_f32_e32 v55, 0xbf3f9e67, v50
	v_add_f32_e32 v53, v55, v53
	v_mul_f32_e32 v55, 0xbf3f9e67, v51
	v_fmac_f32_e32 v86, 0x3f116cb1, v56
	v_mov_b32_e32 v56, v55
	v_fma_f32 v54, v50, s10, -v54
	v_fmac_f32_e32 v55, 0xbf29c268, v48
	v_fmac_f32_e32 v56, 0x3f29c268, v48
	v_add_f32_e32 v52, v54, v52
	v_add_f32_e32 v54, v55, v58
	v_mul_f32_e32 v58, 0x3df6dbef, v51
	v_add_f32_e32 v56, v56, v59
	v_mul_f32_e32 v55, 0x3f7e222b, v49
	v_mov_b32_e32 v59, v58
	v_fmac_f32_e32 v58, 0x3f7e222b, v48
	v_add_f32_e32 v36, v57, v36
	v_mov_b32_e32 v57, v55
	v_fma_f32 v55, v50, s2, -v55
	v_add_f32_e32 v64, v58, v64
	v_mul_f32_e32 v58, 0xbf52af12, v49
	v_add_f32_e32 v55, v55, v62
	v_mov_b32_e32 v62, v58
	v_fmac_f32_e32 v59, 0xbf7e222b, v48
	v_fmac_f32_e32 v62, 0x3f116cb1, v50
	;; [unrolled: 1-line block ×3, first 2 shown]
	v_add_f32_e32 v59, v59, v66
	v_add_f32_e32 v66, v62, v67
	v_mul_f32_e32 v62, 0x3f116cb1, v51
	v_fma_f32 v58, v50, s3, -v58
	v_add_f32_e32 v57, v57, v63
	v_mov_b32_e32 v63, v62
	v_add_f32_e32 v65, v58, v65
	v_fmac_f32_e32 v62, 0xbf52af12, v48
	v_mul_f32_e32 v58, 0x3e750f2a, v49
	v_add_f32_e32 v68, v62, v68
	v_mov_b32_e32 v62, v58
	v_fmac_f32_e32 v63, 0x3f52af12, v48
	v_fmac_f32_e32 v62, 0xbf788fa5, v50
	v_add_f32_e32 v67, v63, v78
	v_add_f32_e32 v78, v62, v79
	v_mul_f32_e32 v62, 0xbf788fa5, v51
	v_fma_f32 v58, v50, s11, -v58
	v_mov_b32_e32 v63, v62
	v_add_f32_e32 v69, v58, v69
	v_fmac_f32_e32 v62, 0x3e750f2a, v48
	v_mul_f32_e32 v58, 0x3eedf032, v49
	v_add_f32_e32 v80, v62, v80
	v_mov_b32_e32 v62, v58
	v_fmac_f32_e32 v63, 0xbe750f2a, v48
	v_fmac_f32_e32 v62, 0x3f62ad3f, v50
	v_add_f32_e32 v93, v93, v97
	v_add_f32_e32 v94, v94, v98
	;; [unrolled: 1-line block ×4, first 2 shown]
	v_mul_f32_e32 v62, 0x3f62ad3f, v51
	v_fma_f32 v58, v50, s8, -v58
	v_mul_f32_e32 v49, 0xbf6f5d39, v49
	v_add_f32_e32 v89, v89, v93
	v_add_f32_e32 v90, v90, v94
	v_mov_b32_e32 v63, v62
	v_add_f32_e32 v82, v58, v82
	v_mov_b32_e32 v58, v49
	v_add_f32_e32 v92, v92, v96
	v_add_f32_e32 v95, v95, v99
	v_add_f32_e32 v85, v85, v89
	v_add_f32_e32 v86, v86, v90
	v_fmac_f32_e32 v63, 0xbeedf032, v48
	v_fmac_f32_e32 v58, 0xbeb58ec6, v50
	v_mul_f32_e32 v51, 0xbeb58ec6, v51
	v_add_f32_e32 v88, v88, v92
	v_add_f32_e32 v91, v91, v95
	v_add_f32_e32 v83, v63, v85
	v_add_f32_e32 v85, v58, v86
	v_mov_b32_e32 v58, v51
	v_fmac_f32_e32 v51, 0xbf6f5d39, v48
	v_sub_f32_e32 v92, v45, v47
	v_add_f32_e32 v84, v84, v88
	v_add_f32_e32 v87, v87, v91
	v_fmac_f32_e32 v58, 0x3f6f5d39, v48
	v_fma_f32 v49, v50, s9, -v49
	v_add_f32_e32 v88, v51, v36
	v_mul_f32_e32 v36, 0xbe750f2a, v92
	v_add_f32_e32 v86, v58, v87
	v_add_f32_e32 v87, v49, v37
	;; [unrolled: 1-line block ×3, first 2 shown]
	v_mov_b32_e32 v37, v36
	v_fmac_f32_e32 v62, 0x3eedf032, v48
	v_add_f32_e32 v90, v47, v45
	v_fmac_f32_e32 v37, 0xbf788fa5, v89
	v_add_f32_e32 v84, v62, v84
	v_add_f32_e32 v62, v37, v53
	v_mul_f32_e32 v37, 0xbf788fa5, v90
	v_sub_f32_e32 v91, v44, v46
	v_mov_b32_e32 v44, v37
	v_mul_f32_e32 v47, 0x3f62ad3f, v90
	v_fmac_f32_e32 v44, 0x3e750f2a, v91
	v_mul_f32_e32 v46, 0x3eedf032, v92
	v_mov_b32_e32 v45, v47
	v_add_f32_e32 v63, v44, v56
	v_mov_b32_e32 v44, v46
	v_fmac_f32_e32 v45, 0xbeedf032, v91
	v_fma_f32 v46, v89, s8, -v46
	v_fmac_f32_e32 v47, 0x3eedf032, v91
	v_mul_f32_e32 v48, 0xbf29c268, v92
	v_mul_f32_e32 v49, 0xbf3f9e67, v90
	v_add_f32_e32 v45, v45, v59
	v_add_f32_e32 v58, v46, v55
	;; [unrolled: 1-line block ×3, first 2 shown]
	v_mov_b32_e32 v46, v48
	v_mov_b32_e32 v47, v49
	v_fma_f32 v36, v89, s11, -v36
	v_fmac_f32_e32 v44, 0x3f62ad3f, v89
	v_fmac_f32_e32 v46, 0xbf3f9e67, v89
	;; [unrolled: 1-line block ×3, first 2 shown]
	v_fma_f32 v48, v89, s10, -v48
	v_fmac_f32_e32 v49, 0xbf29c268, v91
	v_mul_f32_e32 v50, 0x3f52af12, v92
	v_mul_f32_e32 v51, 0x3f116cb1, v90
	v_add_f32_e32 v36, v36, v52
	v_fmac_f32_e32 v37, 0xbe750f2a, v91
	v_add_f32_e32 v44, v44, v57
	v_add_f32_e32 v46, v46, v66
	;; [unrolled: 1-line block ×5, first 2 shown]
	v_mov_b32_e32 v48, v50
	v_mov_b32_e32 v49, v51
	v_fma_f32 v50, v89, s3, -v50
	v_fmac_f32_e32 v51, 0x3f52af12, v91
	v_mul_f32_e32 v52, 0xbf6f5d39, v92
	v_mul_f32_e32 v53, 0xbeb58ec6, v90
	v_mul_f32_e32 v66, 0x3f7e222b, v92
	v_mul_f32_e32 v67, 0x3df6dbef, v90
	v_add_f32_e32 v37, v37, v54
	v_add_f32_e32 v54, v50, v69
	;; [unrolled: 1-line block ×3, first 2 shown]
	v_mov_b32_e32 v50, v52
	v_mov_b32_e32 v51, v53
	;; [unrolled: 1-line block ×4, first 2 shown]
	v_fmac_f32_e32 v48, 0x3f116cb1, v89
	v_fmac_f32_e32 v49, 0xbf52af12, v91
	;; [unrolled: 1-line block ×4, first 2 shown]
	v_fma_f32 v52, v89, s9, -v52
	v_fmac_f32_e32 v53, 0xbf6f5d39, v91
	v_fmac_f32_e32 v64, 0x3df6dbef, v89
	;; [unrolled: 1-line block ×3, first 2 shown]
	v_fma_f32 v66, v89, s2, -v66
	v_fmac_f32_e32 v67, 0x3f7e222b, v91
	v_add_f32_e32 v48, v48, v78
	v_add_f32_e32 v49, v49, v79
	;; [unrolled: 1-line block ×10, first 2 shown]
	s_barrier
	s_and_saveexec_b64 s[2:3], vcc
	s_cbranch_execz .LBB0_17
; %bb.16:
	v_lshlrev_b32_e32 v68, 3, v77
	ds_write2_b64 v68, v[60:61], v[62:63] offset1:1
	ds_write2_b64 v68, v[44:45], v[46:47] offset0:2 offset1:3
	ds_write2_b64 v68, v[48:49], v[50:51] offset0:4 offset1:5
	;; [unrolled: 1-line block ×5, first 2 shown]
	ds_write_b64 v68, v[36:37] offset:96
.LBB0_17:
	s_or_b64 exec, exec, s[2:3]
	s_waitcnt lgkmcnt(0)
	s_barrier
	s_and_saveexec_b64 s[2:3], s[0:1]
	s_cbranch_execz .LBB0_19
; %bb.18:
	v_add_u32_e32 v36, 0x800, v73
	ds_read2_b64 v[60:63], v73 offset1:65
	ds_read2_b64 v[44:47], v73 offset0:130 offset1:195
	ds_read2_b64 v[48:51], v36 offset0:4 offset1:69
	;; [unrolled: 1-line block ×3, first 2 shown]
	v_add_u32_e32 v36, 0x1000, v73
	v_add_u32_e32 v40, 0x1800, v73
	ds_read2_b64 v[52:55], v36 offset0:8 offset1:73
	ds_read2_b64 v[56:59], v36 offset0:138 offset1:203
	;; [unrolled: 1-line block ×4, first 2 shown]
.LBB0_19:
	s_or_b64 exec, exec, s[2:3]
	s_waitcnt lgkmcnt(0)
	s_barrier
	s_and_saveexec_b64 s[2:3], s[0:1]
	s_cbranch_execz .LBB0_21
; %bb.20:
	v_mul_f32_e32 v77, v15, v65
	v_mul_f32_e32 v15, v15, v64
	v_fmac_f32_e32 v77, v14, v64
	v_mul_f32_e32 v78, v27, v41
	v_fma_f32 v14, v14, v65, -v15
	v_mul_f32_e32 v15, v27, v40
	v_mul_f32_e32 v27, v1, v67
	;; [unrolled: 1-line block ×3, first 2 shown]
	v_fmac_f32_e32 v27, v0, v66
	v_fma_f32 v66, v0, v67, -v1
	v_mul_f32_e32 v0, v72, v42
	v_mul_f32_e32 v68, v11, v44
	v_fmac_f32_e32 v78, v26, v40
	v_mul_f32_e32 v11, v11, v45
	v_mul_f32_e32 v40, v72, v43
	v_fma_f32 v0, v71, v43, -v0
	v_fma_f32 v68, v10, v45, -v68
	v_mul_f32_e32 v69, v19, v56
	v_fmac_f32_e32 v11, v10, v44
	v_mul_f32_e32 v10, v19, v57
	v_mul_f32_e32 v19, v5, v46
	v_fmac_f32_e32 v40, v71, v42
	v_sub_f32_e32 v42, v66, v0
	v_mul_f32_e32 v5, v5, v47
	v_mul_f32_e32 v0, v21, v59
	v_fma_f32 v15, v26, v41, -v15
	v_mul_f32_e32 v26, v21, v58
	v_fmac_f32_e32 v5, v4, v46
	v_fmac_f32_e32 v0, v20, v58
	;; [unrolled: 1-line block ×3, first 2 shown]
	v_fma_f32 v26, v20, v59, -v26
	v_mul_f32_e32 v56, v13, v51
	v_sub_f32_e32 v20, v5, v0
	v_mul_f32_e32 v0, v13, v50
	v_fmac_f32_e32 v56, v12, v50
	v_fma_f32 v12, v12, v51, -v0
	v_mul_f32_e32 v0, v25, v38
	v_fma_f32 v0, v24, v39, -v0
	v_mul_f32_e32 v44, v9, v62
	v_sub_f32_e32 v13, v12, v0
	v_mul_f32_e32 v9, v9, v63
	v_mul_f32_e32 v0, v17, v55
	;; [unrolled: 1-line block ×3, first 2 shown]
	v_fmac_f32_e32 v9, v8, v62
	v_fmac_f32_e32 v0, v16, v54
	v_mul_f32_e32 v81, v7, v49
	v_fma_f32 v45, v16, v55, -v45
	v_sub_f32_e32 v16, v9, v0
	v_mul_f32_e32 v0, v7, v48
	v_mul_f32_e32 v80, v3, v52
	v_fmac_f32_e32 v81, v6, v48
	v_fma_f32 v6, v6, v49, -v0
	v_mul_f32_e32 v0, v23, v36
	v_fma_f32 v80, v2, v53, -v80
	v_fma_f32 v0, v22, v37, -v0
	v_sub_f32_e32 v80, v61, v80
	v_sub_f32_e32 v7, v6, v0
	v_fma_f32 v69, v18, v57, -v69
	v_sub_f32_e32 v78, v77, v78
	v_mul_f32_e32 v82, v23, v37
	v_sub_f32_e32 v10, v11, v10
	v_mul_f32_e32 v57, v25, v39
	v_fma_f32 v25, v61, 2.0, -v80
	v_fma_f32 v6, v6, 2.0, -v7
	v_fmac_f32_e32 v82, v22, v36
	v_fma_f32 v19, v4, v47, -v19
	v_sub_f32_e32 v40, v27, v40
	v_sub_f32_e32 v36, v25, v6
	v_fma_f32 v37, v11, 2.0, -v10
	v_fma_f32 v6, v77, 2.0, -v78
	v_sub_f32_e32 v26, v19, v26
	v_fmac_f32_e32 v57, v24, v38
	v_add_f32_e32 v17, v13, v16
	v_sub_f32_e32 v38, v37, v6
	v_fma_f32 v6, v12, 2.0, -v13
	v_fma_f32 v13, v5, 2.0, -v20
	;; [unrolled: 1-line block ×3, first 2 shown]
	v_sub_f32_e32 v57, v56, v57
	v_mul_f32_e32 v0, v3, v53
	v_sub_f32_e32 v27, v13, v5
	v_fma_f32 v19, v19, 2.0, -v26
	v_fma_f32 v5, v66, 2.0, -v42
	v_sub_f32_e32 v69, v68, v69
	v_sub_f32_e32 v82, v81, v82
	;; [unrolled: 1-line block ×3, first 2 shown]
	v_fma_f32 v44, v8, v63, -v44
	v_add_f32_e32 v21, v42, v20
	v_fmac_f32_e32 v0, v2, v52
	v_sub_f32_e32 v42, v19, v5
	v_fma_f32 v46, v9, 2.0, -v16
	v_fma_f32 v5, v56, 2.0, -v57
	v_sub_f32_e32 v83, v80, v82
	v_sub_f32_e32 v45, v44, v45
	;; [unrolled: 1-line block ×4, first 2 shown]
	v_fma_f32 v49, v68, 2.0, -v69
	v_fma_f32 v5, v14, 2.0, -v15
	v_sub_f32_e32 v79, v69, v78
	v_mov_b32_e32 v84, v83
	v_add_f32_e32 v18, v15, v10
	v_sub_f32_e32 v64, v45, v57
	v_mov_b32_e32 v24, v17
	v_add_f32_e32 v22, v7, v2
	v_fma_f32 v43, v44, 2.0, -v45
	v_sub_f32_e32 v14, v49, v5
	v_fma_f32 v15, v60, 2.0, -v2
	v_fma_f32 v5, v81, 2.0, -v82
	v_fmac_f32_e32 v84, 0x3f3504f3, v79
	v_sub_f32_e32 v41, v26, v40
	v_mov_b32_e32 v65, v64
	v_fmac_f32_e32 v24, 0x3f3504f3, v21
	v_mov_b32_e32 v23, v22
	v_sub_f32_e32 v44, v43, v6
	v_sub_f32_e32 v50, v15, v5
	v_fma_f32 v45, v45, 2.0, -v64
	v_fma_f32 v46, v46, 2.0, -v47
	v_fma_f32 v13, v13, 2.0, -v27
	v_fmac_f32_e32 v84, 0xbf3504f3, v18
	v_fmac_f32_e32 v65, 0x3f3504f3, v41
	;; [unrolled: 1-line block ×4, first 2 shown]
	v_sub_f32_e32 v40, v44, v27
	v_fma_f32 v12, v26, 2.0, -v41
	v_mov_b32_e32 v26, v45
	v_fma_f32 v41, v16, 2.0, -v17
	v_sub_f32_e32 v27, v46, v13
	v_fma_f32 v57, v15, 2.0, -v50
	v_fma_f32 v13, v37, 2.0, -v38
	v_fmac_f32_e32 v65, 0xbf3504f3, v21
	v_mov_b32_e32 v1, v84
	v_fmac_f32_e32 v23, 0x3f3504f3, v79
	v_sub_f32_e32 v39, v36, v38
	v_fma_f32 v11, v10, 2.0, -v18
	v_fmac_f32_e32 v26, 0xbf3504f3, v12
	v_fma_f32 v18, v20, 2.0, -v21
	v_mov_b32_e32 v54, v41
	v_sub_f32_e32 v38, v57, v13
	v_fma_f32 v13, v19, 2.0, -v42
	v_fma_f32 v19, v83, 2.0, -v84
	v_fmac_f32_e32 v1, 0x3f6c835e, v65
	v_mov_b32_e32 v0, v23
	v_fmac_f32_e32 v26, 0xbf3504f3, v18
	v_fmac_f32_e32 v54, 0xbf3504f3, v18
	v_fma_f32 v21, v64, 2.0, -v65
	v_mov_b32_e32 v18, v19
	v_fmac_f32_e32 v1, 0xbec3ef15, v24
	v_fmac_f32_e32 v0, 0x3f6c835e, v24
	;; [unrolled: 1-line block ×3, first 2 shown]
	v_fma_f32 v24, v17, 2.0, -v24
	v_fmac_f32_e32 v18, 0xbf6c835e, v24
	v_fma_f32 v20, v19, 2.0, -v18
	v_fma_f32 v19, v22, 2.0, -v23
	v_mov_b32_e32 v17, v19
	v_fmac_f32_e32 v17, 0xbec3ef15, v24
	v_fmac_f32_e32 v0, 0x3ec3ef15, v65
	;; [unrolled: 1-line block ×3, first 2 shown]
	v_fma_f32 v21, v36, 2.0, -v39
	v_fma_f32 v3, v23, 2.0, -v0
	v_add_f32_e32 v48, v42, v47
	v_fma_f32 v2, v2, 2.0, -v22
	v_fma_f32 v23, v44, 2.0, -v40
	v_mov_b32_e32 v22, v21
	v_add_f32_e32 v51, v14, v50
	v_fma_f32 v52, v80, 2.0, -v83
	v_mov_b32_e32 v55, v2
	v_fma_f32 v56, v25, 2.0, -v36
	v_fmac_f32_e32 v22, 0xbf3504f3, v23
	v_fma_f32 v25, v47, 2.0, -v48
	v_fma_f32 v9, v69, 2.0, -v79
	v_mov_b32_e32 v53, v52
	v_fmac_f32_e32 v55, 0xbf3504f3, v11
	v_fmac_f32_e32 v22, 0xbf3504f3, v25
	v_fma_f32 v36, v50, 2.0, -v51
	v_fmac_f32_e32 v53, 0xbf3504f3, v9
	v_fmac_f32_e32 v55, 0x3f3504f3, v9
	v_fma_f32 v24, v21, 2.0, -v22
	v_mov_b32_e32 v21, v36
	v_mov_b32_e32 v6, v39
	v_fmac_f32_e32 v53, 0xbf3504f3, v11
	v_fmac_f32_e32 v54, 0x3f3504f3, v12
	v_mov_b32_e32 v9, v55
	v_fmac_f32_e32 v21, 0xbf3504f3, v25
	v_fmac_f32_e32 v6, 0x3f3504f3, v40
	;; [unrolled: 3-line block ×3, first 2 shown]
	v_fma_f32 v25, v52, 2.0, -v53
	v_fmac_f32_e32 v6, 0xbf3504f3, v48
	v_fmac_f32_e32 v10, 0x3ec3ef15, v26
	;; [unrolled: 1-line block ×3, first 2 shown]
	v_fma_f32 v23, v36, 2.0, -v21
	v_fma_f32 v36, v45, 2.0, -v26
	v_mov_b32_e32 v26, v25
	v_fma_f32 v8, v39, 2.0, -v6
	v_fmac_f32_e32 v26, 0xbf6c835e, v36
	v_fma_f32 v39, v41, 2.0, -v54
	v_fmac_f32_e32 v26, 0xbec3ef15, v39
	v_fma_f32 v2, v2, 2.0, -v55
	v_fma_f32 v37, v25, 2.0, -v26
	v_mov_b32_e32 v25, v2
	v_fma_f32 v14, v49, 2.0, -v14
	v_fma_f32 v43, v43, 2.0, -v44
	v_fmac_f32_e32 v25, 0xbf6c835e, v39
	v_sub_f32_e32 v49, v56, v14
	v_sub_f32_e32 v42, v43, v13
	v_fmac_f32_e32 v25, 0x3ec3ef15, v36
	v_fma_f32 v36, v2, 2.0, -v25
	v_fma_f32 v2, v56, 2.0, -v49
	;; [unrolled: 1-line block ×3, first 2 shown]
	v_sub_f32_e32 v39, v2, v39
	v_mov_b32_e32 v5, v51
	v_sub_f32_e32 v14, v49, v27
	v_add_f32_e32 v13, v38, v42
	v_fma_f32 v41, v2, 2.0, -v39
	v_fma_f32 v2, v57, 2.0, -v38
	;; [unrolled: 1-line block ×3, first 2 shown]
	v_fmac_f32_e32 v5, 0x3f3504f3, v48
	v_fma_f32 v15, v38, 2.0, -v13
	v_sub_f32_e32 v38, v2, v27
	v_fmac_f32_e32 v5, 0x3f3504f3, v40
	v_fma_f32 v40, v2, 2.0, -v38
	v_mul_u32_u24_e32 v2, 0xd0, v75
	v_or_b32_e32 v2, v2, v76
	v_fmac_f32_e32 v10, 0xbf6c835e, v54
	v_lshlrev_b32_e32 v2, 3, v2
	v_fma_f32 v4, v84, 2.0, -v1
	v_fma_f32 v7, v51, 2.0, -v5
	;; [unrolled: 1-line block ×6, first 2 shown]
	ds_write2_b64 v2, v[40:41], v[36:37] offset1:13
	ds_write2_b64 v2, v[23:24], v[19:20] offset0:26 offset1:39
	ds_write2_b64 v2, v[15:16], v[11:12] offset0:52 offset1:65
	;; [unrolled: 1-line block ×7, first 2 shown]
.LBB0_21:
	s_or_b64 exec, exec, s[2:3]
	s_waitcnt lgkmcnt(0)
	s_barrier
	ds_read2_b64 v[0:3], v73 offset1:208
	v_add_u32_e32 v10, 0xc00, v73
	ds_read2_b64 v[4:7], v10 offset0:32 offset1:240
	ds_read_b64 v[8:9], v73 offset:6656
	s_waitcnt lgkmcnt(2)
	v_mul_f32_e32 v11, v33, v3
	v_fmac_f32_e32 v11, v32, v2
	v_mul_f32_e32 v2, v33, v2
	v_fma_f32 v12, v32, v3, -v2
	s_waitcnt lgkmcnt(1)
	v_mul_f32_e32 v13, v35, v5
	v_mul_f32_e32 v2, v35, v4
	;; [unrolled: 1-line block ×3, first 2 shown]
	v_fmac_f32_e32 v13, v34, v4
	v_fma_f32 v14, v34, v5, -v2
	v_fmac_f32_e32 v15, v28, v6
	v_mul_f32_e32 v2, v29, v6
	v_fma_f32 v16, v28, v7, -v2
	s_waitcnt lgkmcnt(0)
	v_mul_f32_e32 v2, v31, v8
	v_add_f32_e32 v3, v13, v15
	v_mul_f32_e32 v7, v31, v9
	v_fma_f32 v17, v30, v9, -v2
	v_fma_f32 v4, -0.5, v3, v0
	v_fmac_f32_e32 v7, v30, v8
	v_sub_f32_e32 v3, v12, v17
	v_mov_b32_e32 v6, v4
	v_fmac_f32_e32 v6, 0xbf737871, v3
	v_sub_f32_e32 v5, v14, v16
	v_sub_f32_e32 v8, v11, v13
	;; [unrolled: 1-line block ×3, first 2 shown]
	v_fmac_f32_e32 v4, 0x3f737871, v3
	v_fmac_f32_e32 v6, 0xbf167918, v5
	v_add_f32_e32 v8, v8, v9
	v_fmac_f32_e32 v4, 0x3f167918, v5
	v_fmac_f32_e32 v6, 0x3e9e377a, v8
	v_fmac_f32_e32 v4, 0x3e9e377a, v8
	v_add_f32_e32 v8, v11, v7
	v_add_f32_e32 v2, v0, v11
	v_fma_f32 v0, -0.5, v8, v0
	v_mov_b32_e32 v8, v0
	v_add_f32_e32 v2, v2, v13
	v_fmac_f32_e32 v8, 0x3f737871, v5
	v_fmac_f32_e32 v0, 0xbf737871, v5
	v_add_f32_e32 v5, v14, v16
	v_add_f32_e32 v2, v2, v15
	v_sub_f32_e32 v9, v13, v11
	v_sub_f32_e32 v18, v15, v7
	v_fma_f32 v5, -0.5, v5, v1
	v_add_f32_e32 v2, v2, v7
	v_fmac_f32_e32 v8, 0xbf167918, v3
	v_add_f32_e32 v9, v9, v18
	v_fmac_f32_e32 v0, 0x3f167918, v3
	v_sub_f32_e32 v11, v11, v7
	v_mov_b32_e32 v7, v5
	v_fmac_f32_e32 v8, 0x3e9e377a, v9
	v_fmac_f32_e32 v0, 0x3e9e377a, v9
	;; [unrolled: 1-line block ×3, first 2 shown]
	v_sub_f32_e32 v13, v13, v15
	v_sub_f32_e32 v9, v12, v14
	;; [unrolled: 1-line block ×3, first 2 shown]
	v_fmac_f32_e32 v5, 0xbf737871, v11
	v_fmac_f32_e32 v7, 0x3f167918, v13
	v_add_f32_e32 v9, v9, v15
	v_fmac_f32_e32 v5, 0xbf167918, v13
	v_fmac_f32_e32 v7, 0x3e9e377a, v9
	;; [unrolled: 1-line block ×3, first 2 shown]
	v_add_f32_e32 v9, v12, v17
	v_add_f32_e32 v3, v1, v12
	v_fma_f32 v1, -0.5, v9, v1
	v_add_f32_e32 v3, v3, v14
	v_mov_b32_e32 v9, v1
	v_add_f32_e32 v3, v3, v16
	v_fmac_f32_e32 v9, 0xbf737871, v13
	v_sub_f32_e32 v12, v14, v12
	v_sub_f32_e32 v14, v16, v17
	v_fmac_f32_e32 v1, 0x3f737871, v13
	v_add_f32_e32 v3, v3, v17
	v_fmac_f32_e32 v9, 0x3f167918, v11
	v_add_f32_e32 v12, v12, v14
	v_fmac_f32_e32 v1, 0xbf167918, v11
	v_fmac_f32_e32 v9, 0x3e9e377a, v12
	;; [unrolled: 1-line block ×3, first 2 shown]
	ds_write2_b64 v73, v[2:3], v[6:7] offset1:208
	ds_write2_b64 v10, v[8:9], v[0:1] offset0:32 offset1:240
	ds_write_b64 v73, v[4:5] offset:6656
	s_waitcnt lgkmcnt(0)
	s_barrier
	s_and_b64 exec, exec, vcc
	s_cbranch_execz .LBB0_23
; %bb.22:
	global_load_dwordx2 v[8:9], v73, s[14:15]
	global_load_dwordx2 v[10:11], v73, s[14:15] offset:640
	global_load_dwordx2 v[12:13], v73, s[14:15] offset:1280
	;; [unrolled: 1-line block ×3, first 2 shown]
	ds_read_b64 v[16:17], v73
	ds_read2_b64 v[0:3], v73 offset0:80 offset1:160
	global_load_dwordx2 v[22:23], v73, s[14:15] offset:2560
	global_load_dwordx2 v[24:25], v73, s[14:15] offset:3200
	;; [unrolled: 1-line block ×3, first 2 shown]
	v_mad_u64_u32 v[18:19], s[0:1], s6, v70, 0
	v_mad_u64_u32 v[20:21], s[2:3], s4, v74, 0
	v_mov_b32_e32 v4, s15
	s_mul_i32 s3, s5, 0x280
	s_mul_hi_u32 s6, s4, 0x280
	v_add_co_u32_e32 v28, vcc, s14, v73
	s_movk_i32 s8, 0x1000
	v_or_b32_e32 v37, 0x280, v74
	v_addc_co_u32_e32 v29, vcc, 0, v4, vcc
	s_add_i32 s3, s6, s3
	v_mad_u64_u32 v[30:31], s[6:7], s7, v70, v[19:20]
	v_add_u32_e32 v5, 0x400, v73
	v_lshlrev_b32_e32 v38, 3, v37
	v_add_co_u32_e32 v28, vcc, s8, v28
	ds_read2_b64 v[4:7], v5 offset0:112 offset1:192
	v_addc_co_u32_e32 v29, vcc, 0, v29, vcc
	v_mov_b32_e32 v19, v30
	v_lshlrev_b64 v[18:19], 3, v[18:19]
	v_mov_b32_e32 v36, s13
	v_add_co_u32_e32 v30, vcc, s12, v18
	s_mul_i32 s2, s4, 0x280
	v_mov_b32_e32 v39, s3
	s_mov_b32 s0, 0x1f81f820
	s_mov_b32 s1, 0x3f4f81f8
	s_waitcnt vmcnt(3) lgkmcnt(0)
	v_mul_f32_e32 v40, v5, v15
	s_waitcnt vmcnt(2)
	v_mad_u64_u32 v[31:32], s[6:7], s5, v74, v[21:22]
	global_load_dwordx2 v[32:33], v38, s[14:15]
	global_load_dwordx2 v[34:35], v[28:29], off offset:384
	v_mul_f32_e32 v38, v1, v11
	v_mov_b32_e32 v21, v31
	v_lshlrev_b64 v[20:21], 3, v[20:21]
	v_addc_co_u32_e32 v31, vcc, v36, v19, vcc
	v_add_co_u32_e32 v18, vcc, v30, v20
	v_addc_co_u32_e32 v19, vcc, v31, v21, vcc
	v_add_co_u32_e32 v20, vcc, s2, v18
	v_mul_f32_e32 v36, v17, v9
	v_mul_f32_e32 v9, v16, v9
	v_addc_co_u32_e32 v21, vcc, v19, v39, vcc
	v_mul_f32_e32 v11, v0, v11
	v_mul_f32_e32 v39, v3, v13
	;; [unrolled: 1-line block ×3, first 2 shown]
	v_fmac_f32_e32 v36, v16, v8
	v_fma_f32 v8, v8, v17, -v9
	v_mul_f32_e32 v15, v4, v15
	v_fmac_f32_e32 v38, v0, v10
	v_fma_f32 v9, v10, v1, -v11
	v_fmac_f32_e32 v39, v2, v12
	v_fma_f32 v12, v12, v3, -v13
	v_cvt_f64_f32_e32 v[0:1], v36
	v_cvt_f64_f32_e32 v[2:3], v8
	v_fmac_f32_e32 v40, v4, v14
	v_fma_f32 v16, v14, v5, -v15
	v_cvt_f64_f32_e32 v[4:5], v38
	v_cvt_f64_f32_e32 v[8:9], v9
	;; [unrolled: 1-line block ×4, first 2 shown]
	v_mul_f64 v[0:1], v[0:1], s[0:1]
	v_mul_f64 v[2:3], v[2:3], s[0:1]
	;; [unrolled: 1-line block ×6, first 2 shown]
	v_cvt_f64_f32_e32 v[14:15], v40
	v_cvt_f64_f32_e32 v[16:17], v16
	v_cvt_f32_f64_e32 v0, v[0:1]
	v_cvt_f32_f64_e32 v1, v[2:3]
	;; [unrolled: 1-line block ×4, first 2 shown]
	v_mul_f64 v[14:15], v[14:15], s[0:1]
	v_mul_f64 v[16:17], v[16:17], s[0:1]
	v_cvt_f32_f64_e32 v4, v[10:11]
	v_cvt_f32_f64_e32 v5, v[12:13]
	global_store_dwordx2 v[18:19], v[0:1], off
	global_store_dwordx2 v[20:21], v[2:3], off
	v_mul_f32_e32 v2, v7, v23
	v_fmac_f32_e32 v2, v6, v22
	v_mov_b32_e32 v1, s3
	v_add_co_u32_e32 v0, vcc, s2, v20
	v_cvt_f64_f32_e32 v[2:3], v2
	v_addc_co_u32_e32 v1, vcc, v21, v1, vcc
	global_store_dwordx2 v[0:1], v[4:5], off
	v_add_co_u32_e32 v8, vcc, s2, v0
	v_mul_f32_e32 v0, v6, v23
	v_fma_f32 v0, v22, v7, -v0
	v_cvt_f32_f64_e32 v4, v[14:15]
	v_cvt_f32_f64_e32 v5, v[16:17]
	v_mov_b32_e32 v9, s3
	v_mul_f64 v[10:11], v[2:3], s[0:1]
	v_cvt_f64_f32_e32 v[6:7], v0
	v_add_u32_e32 v0, 0x800, v73
	v_addc_co_u32_e32 v9, vcc, v1, v9, vcc
	ds_read2_b64 v[0:3], v0 offset0:144 offset1:224
	global_store_dwordx2 v[8:9], v[4:5], off
	v_mul_f64 v[4:5], v[6:7], s[0:1]
	v_cvt_f32_f64_e32 v6, v[10:11]
	global_load_dwordx2 v[12:13], v[28:29], off offset:1664
	s_waitcnt vmcnt(8) lgkmcnt(0)
	v_mul_f32_e32 v7, v1, v25
	v_fmac_f32_e32 v7, v0, v24
	v_cvt_f64_f32_e32 v[10:11], v7
	v_mul_f32_e32 v0, v0, v25
	v_fma_f32 v0, v24, v1, -v0
	v_cvt_f64_f32_e32 v[0:1], v0
	v_cvt_f32_f64_e32 v7, v[4:5]
	v_mul_f64 v[4:5], v[10:11], s[0:1]
	global_load_dwordx2 v[10:11], v[28:29], off offset:2304
	v_mul_f64 v[0:1], v[0:1], s[0:1]
	v_mov_b32_e32 v14, s3
	v_add_co_u32_e32 v8, vcc, s2, v8
	v_addc_co_u32_e32 v9, vcc, v9, v14, vcc
	v_cvt_f32_f64_e32 v4, v[4:5]
	global_store_dwordx2 v[8:9], v[6:7], off
	v_cvt_f32_f64_e32 v5, v[0:1]
	s_waitcnt vmcnt(9)
	v_mul_f32_e32 v0, v3, v27
	v_fmac_f32_e32 v0, v2, v26
	v_cvt_f64_f32_e32 v[0:1], v0
	v_mov_b32_e32 v7, s3
	v_add_co_u32_e32 v6, vcc, s2, v8
	v_addc_co_u32_e32 v7, vcc, v9, v7, vcc
	v_mul_f64 v[8:9], v[0:1], s[0:1]
	v_mul_f32_e32 v0, v2, v27
	v_fma_f32 v0, v26, v3, -v0
	v_cvt_f64_f32_e32 v[14:15], v0
	v_add_u32_e32 v0, 0x1000, v73
	ds_read2_b64 v[0:3], v0 offset0:48 offset1:128
	global_store_dwordx2 v[6:7], v[4:5], off
	global_load_dwordx2 v[4:5], v[28:29], off offset:2944
	v_mul_f64 v[14:15], v[14:15], s[0:1]
	v_cvt_f32_f64_e32 v8, v[8:9]
	s_waitcnt vmcnt(9) lgkmcnt(0)
	v_mul_f32_e32 v9, v1, v35
	v_fmac_f32_e32 v9, v0, v34
	v_cvt_f64_f32_e32 v[16:17], v9
	v_mul_f32_e32 v0, v0, v35
	v_fma_f32 v0, v34, v1, -v0
	v_cvt_f64_f32_e32 v[0:1], v0
	v_cvt_f32_f64_e32 v9, v[14:15]
	v_mul_f64 v[14:15], v[16:17], s[0:1]
	global_load_dwordx2 v[16:17], v[28:29], off offset:3584
	v_mul_f64 v[0:1], v[0:1], s[0:1]
	v_mov_b32_e32 v18, s3
	v_add_co_u32_e32 v6, vcc, s2, v6
	v_addc_co_u32_e32 v7, vcc, v7, v18, vcc
	global_store_dwordx2 v[6:7], v[8:9], off
	v_mul_f32_e32 v8, v3, v33
	v_fmac_f32_e32 v8, v2, v32
	v_cvt_f64_f32_e32 v[8:9], v8
	v_cvt_f32_f64_e32 v14, v[14:15]
	v_cvt_f32_f64_e32 v15, v[0:1]
	v_mul_f32_e32 v0, v2, v33
	v_fma_f32 v0, v32, v3, -v0
	v_mul_f64 v[8:9], v[8:9], s[0:1]
	v_cvt_f64_f32_e32 v[0:1], v0
	v_add_co_u32_e32 v6, vcc, s2, v6
	v_addc_co_u32_e32 v7, vcc, v7, v18, vcc
	global_store_dwordx2 v[6:7], v[14:15], off
	v_mul_f64 v[14:15], v[0:1], s[0:1]
	v_mad_u64_u32 v[18:19], s[6:7], s4, v37, 0
	v_add_u32_e32 v0, 0x1400, v73
	ds_read2_b64 v[0:3], v0 offset0:80 offset1:160
	v_cvt_f32_f64_e32 v8, v[8:9]
	v_mov_b32_e32 v9, v19
	s_waitcnt vmcnt(6)
	v_mad_u64_u32 v[19:20], s[6:7], s5, v37, v[9:10]
	s_waitcnt lgkmcnt(0)
	v_mul_f32_e32 v9, v1, v13
	v_fmac_f32_e32 v9, v0, v12
	v_mul_f32_e32 v0, v0, v13
	v_fma_f32 v0, v12, v1, -v0
	v_cvt_f64_f32_e32 v[20:21], v9
	v_cvt_f32_f64_e32 v9, v[14:15]
	v_lshlrev_b64 v[14:15], 3, v[18:19]
	v_cvt_f64_f32_e32 v[0:1], v0
	v_add_co_u32_e32 v12, vcc, v30, v14
	v_addc_co_u32_e32 v13, vcc, v31, v15, vcc
	global_store_dwordx2 v[12:13], v[8:9], off
	v_mul_f64 v[0:1], v[0:1], s[0:1]
	v_mul_f32_e32 v12, v3, v11
	v_fmac_f32_e32 v12, v2, v10
	v_mul_f64 v[18:19], v[20:21], s[0:1]
	v_cvt_f64_f32_e32 v[12:13], v12
	v_mul_f32_e32 v2, v2, v11
	v_fma_f32 v2, v10, v3, -v2
	v_cvt_f64_f32_e32 v[2:3], v2
	v_mul_f64 v[10:11], v[12:13], s[0:1]
	v_mov_b32_e32 v9, 0x500
	v_mad_u64_u32 v[6:7], s[6:7], s4, v9, v[6:7]
	v_cvt_f32_f64_e32 v9, v[0:1]
	v_add_u32_e32 v0, 0x1800, v73
	v_mul_f64 v[12:13], v[2:3], s[0:1]
	ds_read2_b64 v[0:3], v0 offset0:112 offset1:192
	v_cvt_f32_f64_e32 v8, v[18:19]
	s_mul_i32 s4, s5, 0x500
	v_add_u32_e32 v7, s4, v7
	global_store_dwordx2 v[6:7], v[8:9], off
	v_cvt_f32_f64_e32 v8, v[10:11]
	s_waitcnt vmcnt(5) lgkmcnt(0)
	v_mul_f32_e32 v10, v1, v5
	v_fmac_f32_e32 v10, v0, v4
	v_mul_f32_e32 v0, v0, v5
	v_fma_f32 v0, v4, v1, -v0
	v_cvt_f64_f32_e32 v[10:11], v10
	v_cvt_f64_f32_e32 v[0:1], v0
	v_cvt_f32_f64_e32 v9, v[12:13]
	v_mov_b32_e32 v12, s3
	v_add_co_u32_e32 v4, vcc, s2, v6
	v_addc_co_u32_e32 v5, vcc, v7, v12, vcc
	v_mul_f64 v[6:7], v[10:11], s[0:1]
	v_mul_f64 v[0:1], v[0:1], s[0:1]
	global_store_dwordx2 v[4:5], v[8:9], off
	s_waitcnt vmcnt(5)
	v_mul_f32_e32 v8, v3, v17
	v_fmac_f32_e32 v8, v2, v16
	v_mul_f32_e32 v2, v2, v17
	v_fma_f32 v2, v16, v3, -v2
	v_cvt_f64_f32_e32 v[8:9], v8
	v_cvt_f64_f32_e32 v[2:3], v2
	v_cvt_f32_f64_e32 v6, v[6:7]
	v_cvt_f32_f64_e32 v7, v[0:1]
	v_mul_f64 v[0:1], v[8:9], s[0:1]
	v_mul_f64 v[2:3], v[2:3], s[0:1]
	v_mov_b32_e32 v8, s3
	v_add_co_u32_e32 v4, vcc, s2, v4
	v_addc_co_u32_e32 v5, vcc, v5, v8, vcc
	global_store_dwordx2 v[4:5], v[6:7], off
	v_cvt_f32_f64_e32 v0, v[0:1]
	v_cvt_f32_f64_e32 v1, v[2:3]
	v_mov_b32_e32 v3, s3
	v_add_co_u32_e32 v2, vcc, s2, v4
	v_addc_co_u32_e32 v3, vcc, v5, v3, vcc
	global_store_dwordx2 v[2:3], v[0:1], off
.LBB0_23:
	s_endpgm
	.section	.rodata,"a",@progbits
	.p2align	6, 0x0
	.amdhsa_kernel bluestein_single_back_len1040_dim1_sp_op_CI_CI
		.amdhsa_group_segment_fixed_size 8320
		.amdhsa_private_segment_fixed_size 0
		.amdhsa_kernarg_size 104
		.amdhsa_user_sgpr_count 6
		.amdhsa_user_sgpr_private_segment_buffer 1
		.amdhsa_user_sgpr_dispatch_ptr 0
		.amdhsa_user_sgpr_queue_ptr 0
		.amdhsa_user_sgpr_kernarg_segment_ptr 1
		.amdhsa_user_sgpr_dispatch_id 0
		.amdhsa_user_sgpr_flat_scratch_init 0
		.amdhsa_user_sgpr_private_segment_size 0
		.amdhsa_uses_dynamic_stack 0
		.amdhsa_system_sgpr_private_segment_wavefront_offset 0
		.amdhsa_system_sgpr_workgroup_id_x 1
		.amdhsa_system_sgpr_workgroup_id_y 0
		.amdhsa_system_sgpr_workgroup_id_z 0
		.amdhsa_system_sgpr_workgroup_info 0
		.amdhsa_system_vgpr_workitem_id 0
		.amdhsa_next_free_vgpr 100
		.amdhsa_next_free_sgpr 16
		.amdhsa_reserve_vcc 1
		.amdhsa_reserve_flat_scratch 0
		.amdhsa_float_round_mode_32 0
		.amdhsa_float_round_mode_16_64 0
		.amdhsa_float_denorm_mode_32 3
		.amdhsa_float_denorm_mode_16_64 3
		.amdhsa_dx10_clamp 1
		.amdhsa_ieee_mode 1
		.amdhsa_fp16_overflow 0
		.amdhsa_exception_fp_ieee_invalid_op 0
		.amdhsa_exception_fp_denorm_src 0
		.amdhsa_exception_fp_ieee_div_zero 0
		.amdhsa_exception_fp_ieee_overflow 0
		.amdhsa_exception_fp_ieee_underflow 0
		.amdhsa_exception_fp_ieee_inexact 0
		.amdhsa_exception_int_div_zero 0
	.end_amdhsa_kernel
	.text
.Lfunc_end0:
	.size	bluestein_single_back_len1040_dim1_sp_op_CI_CI, .Lfunc_end0-bluestein_single_back_len1040_dim1_sp_op_CI_CI
                                        ; -- End function
	.section	.AMDGPU.csdata,"",@progbits
; Kernel info:
; codeLenInByte = 13512
; NumSgprs: 20
; NumVgprs: 100
; ScratchSize: 0
; MemoryBound: 0
; FloatMode: 240
; IeeeMode: 1
; LDSByteSize: 8320 bytes/workgroup (compile time only)
; SGPRBlocks: 2
; VGPRBlocks: 24
; NumSGPRsForWavesPerEU: 20
; NumVGPRsForWavesPerEU: 100
; Occupancy: 2
; WaveLimiterHint : 1
; COMPUTE_PGM_RSRC2:SCRATCH_EN: 0
; COMPUTE_PGM_RSRC2:USER_SGPR: 6
; COMPUTE_PGM_RSRC2:TRAP_HANDLER: 0
; COMPUTE_PGM_RSRC2:TGID_X_EN: 1
; COMPUTE_PGM_RSRC2:TGID_Y_EN: 0
; COMPUTE_PGM_RSRC2:TGID_Z_EN: 0
; COMPUTE_PGM_RSRC2:TIDIG_COMP_CNT: 0
	.type	__hip_cuid_1b78ff735f4b2c26,@object ; @__hip_cuid_1b78ff735f4b2c26
	.section	.bss,"aw",@nobits
	.globl	__hip_cuid_1b78ff735f4b2c26
__hip_cuid_1b78ff735f4b2c26:
	.byte	0                               ; 0x0
	.size	__hip_cuid_1b78ff735f4b2c26, 1

	.ident	"AMD clang version 19.0.0git (https://github.com/RadeonOpenCompute/llvm-project roc-6.4.0 25133 c7fe45cf4b819c5991fe208aaa96edf142730f1d)"
	.section	".note.GNU-stack","",@progbits
	.addrsig
	.addrsig_sym __hip_cuid_1b78ff735f4b2c26
	.amdgpu_metadata
---
amdhsa.kernels:
  - .args:
      - .actual_access:  read_only
        .address_space:  global
        .offset:         0
        .size:           8
        .value_kind:     global_buffer
      - .actual_access:  read_only
        .address_space:  global
        .offset:         8
        .size:           8
        .value_kind:     global_buffer
      - .actual_access:  read_only
        .address_space:  global
        .offset:         16
        .size:           8
        .value_kind:     global_buffer
      - .actual_access:  read_only
        .address_space:  global
        .offset:         24
        .size:           8
        .value_kind:     global_buffer
      - .actual_access:  read_only
        .address_space:  global
        .offset:         32
        .size:           8
        .value_kind:     global_buffer
      - .offset:         40
        .size:           8
        .value_kind:     by_value
      - .address_space:  global
        .offset:         48
        .size:           8
        .value_kind:     global_buffer
      - .address_space:  global
        .offset:         56
        .size:           8
        .value_kind:     global_buffer
      - .address_space:  global
        .offset:         64
        .size:           8
        .value_kind:     global_buffer
      - .address_space:  global
        .offset:         72
        .size:           8
        .value_kind:     global_buffer
      - .offset:         80
        .size:           4
        .value_kind:     by_value
      - .address_space:  global
        .offset:         88
        .size:           8
        .value_kind:     global_buffer
      - .address_space:  global
        .offset:         96
        .size:           8
        .value_kind:     global_buffer
    .group_segment_fixed_size: 8320
    .kernarg_segment_align: 8
    .kernarg_segment_size: 104
    .language:       OpenCL C
    .language_version:
      - 2
      - 0
    .max_flat_workgroup_size: 208
    .name:           bluestein_single_back_len1040_dim1_sp_op_CI_CI
    .private_segment_fixed_size: 0
    .sgpr_count:     20
    .sgpr_spill_count: 0
    .symbol:         bluestein_single_back_len1040_dim1_sp_op_CI_CI.kd
    .uniform_work_group_size: 1
    .uses_dynamic_stack: false
    .vgpr_count:     100
    .vgpr_spill_count: 0
    .wavefront_size: 64
amdhsa.target:   amdgcn-amd-amdhsa--gfx906
amdhsa.version:
  - 1
  - 2
...

	.end_amdgpu_metadata
